;; amdgpu-corpus repo=ROCm/rocFFT kind=compiled arch=gfx1030 opt=O3
	.text
	.amdgcn_target "amdgcn-amd-amdhsa--gfx1030"
	.amdhsa_code_object_version 6
	.protected	fft_rtc_back_len2016_factors_2_2_2_2_2_3_3_7_wgs_224_tpt_112_halfLds_sp_op_CI_CI_unitstride_sbrr_dirReg ; -- Begin function fft_rtc_back_len2016_factors_2_2_2_2_2_3_3_7_wgs_224_tpt_112_halfLds_sp_op_CI_CI_unitstride_sbrr_dirReg
	.globl	fft_rtc_back_len2016_factors_2_2_2_2_2_3_3_7_wgs_224_tpt_112_halfLds_sp_op_CI_CI_unitstride_sbrr_dirReg
	.p2align	8
	.type	fft_rtc_back_len2016_factors_2_2_2_2_2_3_3_7_wgs_224_tpt_112_halfLds_sp_op_CI_CI_unitstride_sbrr_dirReg,@function
fft_rtc_back_len2016_factors_2_2_2_2_2_3_3_7_wgs_224_tpt_112_halfLds_sp_op_CI_CI_unitstride_sbrr_dirReg: ; @fft_rtc_back_len2016_factors_2_2_2_2_2_3_3_7_wgs_224_tpt_112_halfLds_sp_op_CI_CI_unitstride_sbrr_dirReg
; %bb.0:
	s_clause 0x2
	s_load_dwordx4 s[8:11], s[4:5], 0x0
	s_load_dwordx4 s[12:15], s[4:5], 0x58
	;; [unrolled: 1-line block ×3, first 2 shown]
	v_mul_u32_u24_e32 v1, 0x24a, v0
	v_mov_b32_e32 v3, 0
	v_lshrrev_b32_e32 v23, 16, v1
	v_mov_b32_e32 v1, 0
	v_mov_b32_e32 v6, v3
	v_mov_b32_e32 v2, 0
	v_lshl_add_u32 v5, s6, 1, v23
	s_waitcnt lgkmcnt(0)
	v_cmp_lt_u64_e64 s0, s[10:11], 2
	s_and_b32 vcc_lo, exec_lo, s0
	s_cbranch_vccnz .LBB0_8
; %bb.1:
	s_load_dwordx2 s[0:1], s[4:5], 0x10
	v_mov_b32_e32 v1, 0
	v_mov_b32_e32 v2, 0
	s_add_u32 s2, s18, 8
	s_addc_u32 s3, s19, 0
	s_add_u32 s6, s16, 8
	s_addc_u32 s7, s17, 0
	v_mov_b32_e32 v25, v2
	v_mov_b32_e32 v24, v1
	s_mov_b64 s[22:23], 1
	s_waitcnt lgkmcnt(0)
	s_add_u32 s20, s0, 8
	s_addc_u32 s21, s1, 0
.LBB0_2:                                ; =>This Inner Loop Header: Depth=1
	s_load_dwordx2 s[24:25], s[20:21], 0x0
                                        ; implicit-def: $vgpr26_vgpr27
	s_mov_b32 s0, exec_lo
	s_waitcnt lgkmcnt(0)
	v_or_b32_e32 v4, s25, v6
	v_cmpx_ne_u64_e32 0, v[3:4]
	s_xor_b32 s1, exec_lo, s0
	s_cbranch_execz .LBB0_4
; %bb.3:                                ;   in Loop: Header=BB0_2 Depth=1
	v_cvt_f32_u32_e32 v4, s24
	v_cvt_f32_u32_e32 v7, s25
	s_sub_u32 s0, 0, s24
	s_subb_u32 s26, 0, s25
	v_fmac_f32_e32 v4, 0x4f800000, v7
	v_rcp_f32_e32 v4, v4
	v_mul_f32_e32 v4, 0x5f7ffffc, v4
	v_mul_f32_e32 v7, 0x2f800000, v4
	v_trunc_f32_e32 v7, v7
	v_fmac_f32_e32 v4, 0xcf800000, v7
	v_cvt_u32_f32_e32 v7, v7
	v_cvt_u32_f32_e32 v4, v4
	v_mul_lo_u32 v8, s0, v7
	v_mul_hi_u32 v9, s0, v4
	v_mul_lo_u32 v10, s26, v4
	v_add_nc_u32_e32 v8, v9, v8
	v_mul_lo_u32 v9, s0, v4
	v_add_nc_u32_e32 v8, v8, v10
	v_mul_hi_u32 v10, v4, v9
	v_mul_lo_u32 v11, v4, v8
	v_mul_hi_u32 v12, v4, v8
	v_mul_hi_u32 v13, v7, v9
	v_mul_lo_u32 v9, v7, v9
	v_mul_hi_u32 v14, v7, v8
	v_mul_lo_u32 v8, v7, v8
	v_add_co_u32 v10, vcc_lo, v10, v11
	v_add_co_ci_u32_e32 v11, vcc_lo, 0, v12, vcc_lo
	v_add_co_u32 v9, vcc_lo, v10, v9
	v_add_co_ci_u32_e32 v9, vcc_lo, v11, v13, vcc_lo
	v_add_co_ci_u32_e32 v10, vcc_lo, 0, v14, vcc_lo
	v_add_co_u32 v8, vcc_lo, v9, v8
	v_add_co_ci_u32_e32 v9, vcc_lo, 0, v10, vcc_lo
	v_add_co_u32 v4, vcc_lo, v4, v8
	v_add_co_ci_u32_e32 v7, vcc_lo, v7, v9, vcc_lo
	v_mul_hi_u32 v8, s0, v4
	v_mul_lo_u32 v10, s26, v4
	v_mul_lo_u32 v9, s0, v7
	v_add_nc_u32_e32 v8, v8, v9
	v_mul_lo_u32 v9, s0, v4
	v_add_nc_u32_e32 v8, v8, v10
	v_mul_hi_u32 v10, v4, v9
	v_mul_lo_u32 v11, v4, v8
	v_mul_hi_u32 v12, v4, v8
	v_mul_hi_u32 v13, v7, v9
	v_mul_lo_u32 v9, v7, v9
	v_mul_hi_u32 v14, v7, v8
	v_mul_lo_u32 v8, v7, v8
	v_add_co_u32 v10, vcc_lo, v10, v11
	v_add_co_ci_u32_e32 v11, vcc_lo, 0, v12, vcc_lo
	v_add_co_u32 v9, vcc_lo, v10, v9
	v_add_co_ci_u32_e32 v9, vcc_lo, v11, v13, vcc_lo
	v_add_co_ci_u32_e32 v10, vcc_lo, 0, v14, vcc_lo
	v_add_co_u32 v8, vcc_lo, v9, v8
	v_add_co_ci_u32_e32 v9, vcc_lo, 0, v10, vcc_lo
	v_add_co_u32 v4, vcc_lo, v4, v8
	v_add_co_ci_u32_e32 v11, vcc_lo, v7, v9, vcc_lo
	v_mul_hi_u32 v13, v5, v4
	v_mad_u64_u32 v[9:10], null, v6, v4, 0
	v_mad_u64_u32 v[7:8], null, v5, v11, 0
	v_mad_u64_u32 v[11:12], null, v6, v11, 0
	v_add_co_u32 v4, vcc_lo, v13, v7
	v_add_co_ci_u32_e32 v7, vcc_lo, 0, v8, vcc_lo
	v_add_co_u32 v4, vcc_lo, v4, v9
	v_add_co_ci_u32_e32 v4, vcc_lo, v7, v10, vcc_lo
	v_add_co_ci_u32_e32 v7, vcc_lo, 0, v12, vcc_lo
	v_add_co_u32 v4, vcc_lo, v4, v11
	v_add_co_ci_u32_e32 v9, vcc_lo, 0, v7, vcc_lo
	v_mul_lo_u32 v10, s25, v4
	v_mad_u64_u32 v[7:8], null, s24, v4, 0
	v_mul_lo_u32 v11, s24, v9
	v_sub_co_u32 v7, vcc_lo, v5, v7
	v_add3_u32 v8, v8, v11, v10
	v_sub_nc_u32_e32 v10, v6, v8
	v_subrev_co_ci_u32_e64 v10, s0, s25, v10, vcc_lo
	v_add_co_u32 v11, s0, v4, 2
	v_add_co_ci_u32_e64 v12, s0, 0, v9, s0
	v_sub_co_u32 v13, s0, v7, s24
	v_sub_co_ci_u32_e32 v8, vcc_lo, v6, v8, vcc_lo
	v_subrev_co_ci_u32_e64 v10, s0, 0, v10, s0
	v_cmp_le_u32_e32 vcc_lo, s24, v13
	v_cmp_eq_u32_e64 s0, s25, v8
	v_cndmask_b32_e64 v13, 0, -1, vcc_lo
	v_cmp_le_u32_e32 vcc_lo, s25, v10
	v_cndmask_b32_e64 v14, 0, -1, vcc_lo
	v_cmp_le_u32_e32 vcc_lo, s24, v7
	;; [unrolled: 2-line block ×3, first 2 shown]
	v_cndmask_b32_e64 v15, 0, -1, vcc_lo
	v_cmp_eq_u32_e32 vcc_lo, s25, v10
	v_cndmask_b32_e64 v7, v15, v7, s0
	v_cndmask_b32_e32 v10, v14, v13, vcc_lo
	v_add_co_u32 v13, vcc_lo, v4, 1
	v_add_co_ci_u32_e32 v14, vcc_lo, 0, v9, vcc_lo
	v_cmp_ne_u32_e32 vcc_lo, 0, v10
	v_cndmask_b32_e32 v8, v14, v12, vcc_lo
	v_cndmask_b32_e32 v10, v13, v11, vcc_lo
	v_cmp_ne_u32_e32 vcc_lo, 0, v7
	v_cndmask_b32_e32 v27, v9, v8, vcc_lo
	v_cndmask_b32_e32 v26, v4, v10, vcc_lo
.LBB0_4:                                ;   in Loop: Header=BB0_2 Depth=1
	s_andn2_saveexec_b32 s0, s1
	s_cbranch_execz .LBB0_6
; %bb.5:                                ;   in Loop: Header=BB0_2 Depth=1
	v_cvt_f32_u32_e32 v4, s24
	s_sub_i32 s1, 0, s24
	v_mov_b32_e32 v27, v3
	v_rcp_iflag_f32_e32 v4, v4
	v_mul_f32_e32 v4, 0x4f7ffffe, v4
	v_cvt_u32_f32_e32 v4, v4
	v_mul_lo_u32 v7, s1, v4
	v_mul_hi_u32 v7, v4, v7
	v_add_nc_u32_e32 v4, v4, v7
	v_mul_hi_u32 v4, v5, v4
	v_mul_lo_u32 v7, v4, s24
	v_add_nc_u32_e32 v8, 1, v4
	v_sub_nc_u32_e32 v7, v5, v7
	v_subrev_nc_u32_e32 v9, s24, v7
	v_cmp_le_u32_e32 vcc_lo, s24, v7
	v_cndmask_b32_e32 v7, v7, v9, vcc_lo
	v_cndmask_b32_e32 v4, v4, v8, vcc_lo
	v_cmp_le_u32_e32 vcc_lo, s24, v7
	v_add_nc_u32_e32 v8, 1, v4
	v_cndmask_b32_e32 v26, v4, v8, vcc_lo
.LBB0_6:                                ;   in Loop: Header=BB0_2 Depth=1
	s_or_b32 exec_lo, exec_lo, s0
	v_mul_lo_u32 v4, v27, s24
	v_mul_lo_u32 v9, v26, s25
	s_load_dwordx2 s[0:1], s[6:7], 0x0
	v_mad_u64_u32 v[7:8], null, v26, s24, 0
	s_load_dwordx2 s[24:25], s[2:3], 0x0
	s_add_u32 s22, s22, 1
	s_addc_u32 s23, s23, 0
	s_add_u32 s2, s2, 8
	s_addc_u32 s3, s3, 0
	s_add_u32 s6, s6, 8
	v_add3_u32 v4, v8, v9, v4
	v_sub_co_u32 v5, vcc_lo, v5, v7
	s_addc_u32 s7, s7, 0
	s_add_u32 s20, s20, 8
	v_sub_co_ci_u32_e32 v4, vcc_lo, v6, v4, vcc_lo
	s_addc_u32 s21, s21, 0
	s_waitcnt lgkmcnt(0)
	v_mul_lo_u32 v6, s0, v4
	v_mul_lo_u32 v7, s1, v5
	v_mad_u64_u32 v[1:2], null, s0, v5, v[1:2]
	v_mul_lo_u32 v4, s24, v4
	v_mul_lo_u32 v8, s25, v5
	v_mad_u64_u32 v[24:25], null, s24, v5, v[24:25]
	v_cmp_ge_u64_e64 s0, s[22:23], s[10:11]
	v_add3_u32 v2, v7, v2, v6
	v_add3_u32 v25, v8, v25, v4
	s_and_b32 vcc_lo, exec_lo, s0
	s_cbranch_vccnz .LBB0_9
; %bb.7:                                ;   in Loop: Header=BB0_2 Depth=1
	v_mov_b32_e32 v5, v26
	v_mov_b32_e32 v6, v27
	s_branch .LBB0_2
.LBB0_8:
	v_mov_b32_e32 v25, v2
	v_mov_b32_e32 v27, v6
	;; [unrolled: 1-line block ×4, first 2 shown]
.LBB0_9:
	s_load_dwordx2 s[0:1], s[4:5], 0x28
	v_mul_hi_u32 v11, 0x2492493, v0
	s_lshl_b64 s[4:5], s[10:11], 3
                                        ; implicit-def: $sgpr6_sgpr7
                                        ; implicit-def: $vgpr57
                                        ; implicit-def: $vgpr49
	s_add_u32 s2, s18, s4
	s_addc_u32 s3, s19, s5
	s_waitcnt lgkmcnt(0)
	v_cmp_gt_u64_e32 vcc_lo, s[0:1], v[26:27]
	v_cmp_le_u64_e64 s0, s[0:1], v[26:27]
	s_and_saveexec_b32 s1, s0
	s_xor_b32 s0, exec_lo, s1
; %bb.10:
	v_mul_u32_u24_e32 v1, 0x70, v11
	s_mov_b64 s[6:7], 0
                                        ; implicit-def: $vgpr11
	v_sub_nc_u32_e32 v57, v0, v1
                                        ; implicit-def: $vgpr0
                                        ; implicit-def: $vgpr1_vgpr2
	v_or_b32_e32 v49, 0x380, v57
; %bb.11:
	s_or_saveexec_b32 s1, s0
	v_mov_b32_e32 v41, s7
	v_mov_b32_e32 v37, s7
	;; [unrolled: 1-line block ×18, first 2 shown]
                                        ; implicit-def: $vgpr43
                                        ; implicit-def: $vgpr29
                                        ; implicit-def: $vgpr12
                                        ; implicit-def: $vgpr22
                                        ; implicit-def: $vgpr14
                                        ; implicit-def: $vgpr35
                                        ; implicit-def: $vgpr20
                                        ; implicit-def: $vgpr33
                                        ; implicit-def: $vgpr39
	s_xor_b32 exec_lo, exec_lo, s1
	s_cbranch_execz .LBB0_13
; %bb.12:
	s_add_u32 s4, s16, s4
	s_addc_u32 s5, s17, s5
	v_mul_u32_u24_e32 v7, 0x70, v11
	s_load_dwordx2 s[4:5], s[4:5], 0x0
	v_sub_nc_u32_e32 v57, v0, v7
	v_lshlrev_b64 v[0:1], 3, v[1:2]
	v_lshlrev_b32_e32 v2, 3, v57
	v_or_b32_e32 v49, 0x380, v57
	s_waitcnt lgkmcnt(0)
	v_mul_lo_u32 v5, s5, v26
	v_mul_lo_u32 v6, s4, v27
	v_mad_u64_u32 v[3:4], null, s4, v26, 0
	v_add3_u32 v4, v4, v6, v5
	v_lshlrev_b64 v[3:4], 3, v[3:4]
	v_add_co_u32 v3, s0, s12, v3
	v_add_co_ci_u32_e64 v4, s0, s13, v4, s0
	v_add_co_u32 v30, s0, v3, v0
	v_add_co_ci_u32_e64 v31, s0, v4, v1, s0
	v_or_b32_e32 v3, 0x3800, v2
	v_add_co_u32 v0, s0, v30, v2
	v_add_co_ci_u32_e64 v1, s0, 0, v31, s0
	v_add_co_u32 v9, s0, v30, v3
	v_add_co_ci_u32_e64 v10, s0, 0, v31, s0
	;; [unrolled: 2-line block ×8, first 2 shown]
	s_clause 0x7
	global_load_dwordx2 v[42:43], v[15:16], off offset:1920
	global_load_dwordx2 v[38:39], v[2:3], off offset:768
	;; [unrolled: 1-line block ×8, first 2 shown]
	v_lshlrev_b32_e32 v2, 3, v49
	s_clause 0x3
	global_load_dwordx2 v[19:20], v[21:22], off offset:1152
	global_load_dwordx2 v[13:14], v[9:10], off
	global_load_dwordx2 v[21:22], v[21:22], off offset:256
	global_load_dwordx2 v[9:10], v[17:18], off offset:1280
	v_add_co_u32 v17, s0, v30, v2
	v_add_co_ci_u32_e64 v18, s0, 0, v31, s0
	v_add_co_u32 v34, s0, 0x3800, v0
	v_add_co_ci_u32_e64 v35, s0, 0, v1, s0
	s_clause 0x5
	global_load_dwordx2 v[40:41], v[0:1], off
	global_load_dwordx2 v[36:37], v[0:1], off offset:896
	global_load_dwordx2 v[30:31], v[0:1], off offset:1792
	;; [unrolled: 1-line block ×3, first 2 shown]
	global_load_dwordx2 v[17:18], v[17:18], off
	global_load_dwordx2 v[34:35], v[34:35], off offset:896
.LBB0_13:
	s_or_b32 exec_lo, exec_lo, s1
	v_and_b32_e32 v0, 1, v23
	s_waitcnt vmcnt(5)
	v_sub_f32_e32 v1, v40, v42
	s_waitcnt vmcnt(4)
	v_sub_f32_e32 v42, v36, v38
	v_sub_f32_e32 v55, v5, v11
	;; [unrolled: 1-line block ×3, first 2 shown]
	v_cmp_eq_u32_e64 s0, 1, v0
	v_fma_f32 v0, v40, 2.0, -v1
	v_add_nc_u32_e32 v47, 0x1c0, v57
	v_fma_f32 v54, v5, 2.0, -v55
	s_waitcnt vmcnt(3)
	v_sub_f32_e32 v44, v30, v32
	v_cndmask_b32_e64 v38, 0, 0x1f80, s0
	v_sub_f32_e32 v63, v9, v19
	v_add_nc_u32_e32 v48, 0x230, v57
	v_sub_f32_e32 v51, v41, v43
	v_sub_f32_e32 v53, v7, v28
	v_add_nc_u32_e32 v46, 0, v38
	v_add_nc_u32_e32 v59, 0x70, v57
	v_fma_f32 v60, v3, 2.0, -v61
	v_add_nc_u32_e32 v58, 0xe0, v57
	v_add_nc_u32_e32 v45, 0x150, v57
	v_lshl_add_u32 v5, v57, 3, v46
	v_lshl_add_u32 v23, v47, 3, v46
	s_waitcnt vmcnt(0)
	v_sub_f32_e32 v3, v17, v34
	v_add_nc_u32_e32 v28, 0x2a0, v57
	v_add_nc_u32_e32 v32, 0x310, v57
	ds_write_b64 v5, v[0:1]
	v_sub_f32_e32 v1, v15, v13
	v_fma_f32 v43, v30, 2.0, -v44
	v_fma_f32 v62, v9, 2.0, -v63
	v_lshl_add_u32 v30, v48, 3, v46
	v_lshlrev_b32_e32 v9, 2, v57
	v_fma_f32 v50, v41, 2.0, -v51
	v_fma_f32 v41, v36, 2.0, -v42
	;; [unrolled: 1-line block ×3, first 2 shown]
	v_lshl_add_u32 v7, v59, 3, v46
	v_lshl_add_u32 v19, v58, 3, v46
	;; [unrolled: 1-line block ×3, first 2 shown]
	ds_write_b64 v23, v[54:55]
	v_fma_f32 v0, v15, 2.0, -v1
	v_lshl_add_u32 v54, v28, 3, v46
	v_fma_f32 v2, v17, 2.0, -v3
	v_lshl_add_u32 v17, v32, 3, v46
	v_lshl_add_u32 v56, v49, 3, v46
	ds_write_b64 v30, v[60:61]
	v_add3_u32 v60, 0, v9, v38
	ds_write_b64 v7, v[41:42]
	ds_write_b64 v19, v[43:44]
	;; [unrolled: 1-line block ×4, first 2 shown]
	s_load_dwordx2 s[2:3], s[2:3], 0x0
	ds_write_b64 v17, v[0:1]
	ds_write_b64 v56, v[2:3]
	v_lshlrev_b32_e32 v0, 2, v49
	v_sub_f32_e32 v1, v37, v39
	v_add_nc_u32_e32 v61, v46, v9
	v_add_nc_u32_e32 v55, 0x1800, v60
	v_sub_f32_e32 v13, v16, v14
	v_sub_nc_u32_e32 v41, v56, v0
	v_add_nc_u32_e32 v44, 0x1c00, v60
	v_fma_f32 v0, v37, 2.0, -v1
	v_add_nc_u32_e32 v40, 0xc00, v60
	v_add_nc_u32_e32 v43, 0x1000, v60
	s_waitcnt lgkmcnt(0)
	s_barrier
	buffer_gl0_inv
	v_add_nc_u32_e32 v36, 0x400, v60
	v_add_nc_u32_e32 v42, 0x1400, v60
	;; [unrolled: 1-line block ×3, first 2 shown]
	ds_read_b32 v76, v61
	ds_read_b32 v77, v41
	ds_read2_b32 v[52:53], v40 offset0:16 offset1:240
	ds_read2_b32 v[62:63], v60 offset0:112 offset1:224
	;; [unrolled: 1-line block ×7, first 2 shown]
	ds_read2_b32 v[74:75], v44 offset1:112
	s_waitcnt lgkmcnt(0)
	s_barrier
	v_sub_f32_e32 v2, v31, v33
	buffer_gl0_inv
	ds_write_b64 v5, v[50:51]
	ds_write_b64 v7, v[0:1]
	v_sub_f32_e32 v7, v6, v12
	v_sub_f32_e32 v15, v18, v35
	v_fma_f32 v12, v16, 2.0, -v13
	v_and_b32_e32 v16, 1, v57
	v_sub_f32_e32 v9, v8, v29
	v_sub_f32_e32 v5, v4, v22
	;; [unrolled: 1-line block ×3, first 2 shown]
	v_fma_f32 v1, v31, 2.0, -v2
	v_fma_f32 v6, v6, 2.0, -v7
	;; [unrolled: 1-line block ×3, first 2 shown]
	v_lshlrev_b32_e32 v0, 3, v16
	v_fma_f32 v8, v8, 2.0, -v9
	v_fma_f32 v4, v4, 2.0, -v5
	;; [unrolled: 1-line block ×3, first 2 shown]
	ds_write_b64 v19, v[1:2]
	ds_write_b64 v21, v[8:9]
	;; [unrolled: 1-line block ×7, first 2 shown]
	s_waitcnt lgkmcnt(0)
	s_barrier
	buffer_gl0_inv
	global_load_dwordx2 v[9:10], v0, s[8:9]
	v_lshlrev_b32_e32 v0, 1, v57
	v_lshlrev_b32_e32 v2, 1, v59
	;; [unrolled: 1-line block ×5, first 2 shown]
	v_and_or_b32 v11, 0xfc, v0, v16
	v_and_or_b32 v12, 0x1fc, v2, v16
	v_lshlrev_b32_e32 v1, 1, v49
	v_lshlrev_b32_e32 v6, 1, v48
	;; [unrolled: 1-line block ×4, first 2 shown]
	v_and_or_b32 v15, 0x3fc, v3, v16
	v_and_or_b32 v17, 0x3fc, v4, v16
	;; [unrolled: 1-line block ×3, first 2 shown]
	v_lshl_add_u32 v33, v11, 2, v46
	v_lshl_add_u32 v35, v12, 2, v46
	ds_read2_b32 v[11:12], v40 offset0:16 offset1:240
	ds_read2_b32 v[13:14], v43 offset0:96 offset1:208
	v_and_or_b32 v19, 0x7fc, v1, v16
	v_and_or_b32 v20, 0x5fc, v6, v16
	;; [unrolled: 1-line block ×4, first 2 shown]
	v_lshl_add_u32 v37, v15, 2, v46
	v_lshl_add_u32 v39, v17, 2, v46
	;; [unrolled: 1-line block ×3, first 2 shown]
	ds_read2_b32 v[15:16], v42 offset0:64 offset1:176
	ds_read2_b32 v[17:18], v55 offset0:32 offset1:144
	v_lshl_add_u32 v50, v20, 2, v46
	v_lshl_add_u32 v51, v21, 2, v46
	;; [unrolled: 1-line block ×4, first 2 shown]
	ds_read2_b32 v[19:20], v44 offset1:112
	ds_read2_b32 v[21:22], v60 offset0:112 offset1:224
	ds_read2_b32 v[28:29], v36 offset0:80 offset1:192
	ds_read_b32 v78, v61
	ds_read_b32 v79, v41
	ds_read2_b32 v[30:31], v34 offset0:48 offset1:160
	v_and_b32_e32 v23, 3, v57
	s_waitcnt vmcnt(0) lgkmcnt(0)
	s_barrier
	buffer_gl0_inv
	v_cmp_gt_u32_e64 s0, 0x60, v57
	v_lshlrev_b32_e32 v32, 3, v23
	v_mul_f32_e32 v81, v13, v10
	v_mul_f32_e32 v80, v12, v10
	;; [unrolled: 1-line block ×16, first 2 shown]
	v_fmac_f32_e32 v81, v64, v9
	v_mul_f32_e32 v64, v75, v10
	v_mul_f32_e32 v10, v53, v10
	v_fmac_f32_e32 v82, v65, v9
	v_fma_f32 v13, v13, v9, -v83
	v_fma_f32 v14, v14, v9, -v84
	v_fmac_f32_e32 v85, v68, v9
	v_fmac_f32_e32 v87, v69, v9
	v_fma_f32 v15, v15, v9, -v86
	v_fma_f32 v16, v16, v9, -v88
	v_fmac_f32_e32 v89, v72, v9
	;; [unrolled: 4-line block ×3, first 2 shown]
	v_fmac_f32_e32 v93, v74, v9
	v_fmac_f32_e32 v95, v75, v9
	v_fma_f32 v19, v19, v9, -v94
	v_fma_f32 v20, v20, v9, -v64
	v_fma_f32 v9, v12, v9, -v10
	v_sub_f32_e32 v10, v76, v80
	v_sub_f32_e32 v72, v52, v93
	;; [unrolled: 1-line block ×18, first 2 shown]
	v_fma_f32 v9, v76, 2.0, -v10
	v_fma_f32 v19, v52, 2.0, -v72
	;; [unrolled: 1-line block ×18, first 2 shown]
	ds_write2_b32 v33, v9, v10 offset1:2
	ds_write2_b32 v35, v13, v12 offset1:2
	;; [unrolled: 1-line block ×9, first 2 shown]
	s_waitcnt lgkmcnt(0)
	s_barrier
	buffer_gl0_inv
	ds_read2_b32 v[9:10], v40 offset0:16 offset1:240
	ds_read2_b32 v[11:12], v60 offset0:112 offset1:224
	ds_read_b32 v72, v61
	ds_read_b32 v73, v41
	ds_read2_b32 v[13:14], v43 offset0:96 offset1:208
	ds_read2_b32 v[15:16], v36 offset0:80 offset1:192
	;; [unrolled: 1-line block ×5, first 2 shown]
	ds_read2_b32 v[28:29], v44 offset1:112
	s_waitcnt lgkmcnt(0)
	s_barrier
	buffer_gl0_inv
	ds_write2_b32 v33, v52, v74 offset1:2
	ds_write2_b32 v35, v62, v75 offset1:2
	;; [unrolled: 1-line block ×9, first 2 shown]
	s_waitcnt lgkmcnt(0)
	s_barrier
	buffer_gl0_inv
	global_load_dwordx2 v[30:31], v32, s[8:9] offset:16
	v_and_or_b32 v32, 0xf8, v0, v23
	v_and_or_b32 v33, 0x1f8, v2, v23
	;; [unrolled: 1-line block ×5, first 2 shown]
	v_lshl_add_u32 v56, v32, 2, v46
	v_lshl_add_u32 v70, v33, 2, v46
	ds_read2_b32 v[32:33], v43 offset0:96 offset1:208
	v_and_or_b32 v52, 0x5f8, v6, v23
	v_and_or_b32 v53, 0x7f8, v7, v23
	v_lshl_add_u32 v71, v49, 2, v46
	v_lshl_add_u32 v74, v50, 2, v46
	ds_read2_b32 v[49:50], v42 offset0:64 offset1:176
	v_lshl_add_u32 v75, v51, 2, v46
	v_lshl_add_u32 v76, v52, 2, v46
	ds_read2_b32 v[51:52], v55 offset0:32 offset1:144
	v_lshl_add_u32 v77, v53, 2, v46
	ds_read2_b32 v[53:54], v44 offset1:112
	ds_read2_b32 v[62:63], v40 offset0:16 offset1:240
	ds_read_b32 v78, v61
	ds_read_b32 v79, v41
	ds_read2_b32 v[64:65], v60 offset0:112 offset1:224
	ds_read2_b32 v[66:67], v36 offset0:80 offset1:192
	;; [unrolled: 1-line block ×3, first 2 shown]
	v_and_b32_e32 v35, 7, v57
	v_and_or_b32 v37, 0x7f8, v1, v23
	v_and_or_b32 v23, 0x7f8, v8, v23
	s_waitcnt vmcnt(0) lgkmcnt(0)
	s_barrier
	v_lshlrev_b32_e32 v39, 3, v35
	v_lshl_add_u32 v37, v37, 2, v46
	v_lshl_add_u32 v23, v23, 2, v46
	buffer_gl0_inv
	v_mul_f32_e32 v80, v32, v31
	v_mul_f32_e32 v81, v33, v31
	;; [unrolled: 1-line block ×5, first 2 shown]
	v_fmac_f32_e32 v80, v13, v30
	v_fmac_f32_e32 v81, v14, v30
	v_mul_f32_e32 v13, v63, v31
	v_mul_f32_e32 v14, v10, v31
	;; [unrolled: 1-line block ×13, first 2 shown]
	v_fmac_f32_e32 v13, v10, v30
	v_fma_f32 v14, v63, v30, -v14
	v_fma_f32 v31, v32, v30, -v82
	;; [unrolled: 1-line block ×3, first 2 shown]
	v_fmac_f32_e32 v84, v17, v30
	v_fma_f32 v17, v49, v30, -v86
	v_fmac_f32_e32 v85, v18, v30
	v_fma_f32 v18, v50, v30, -v87
	v_fmac_f32_e32 v88, v21, v30
	v_fmac_f32_e32 v89, v22, v30
	;; [unrolled: 1-line block ×4, first 2 shown]
	v_fma_f32 v21, v51, v30, -v90
	v_fma_f32 v22, v52, v30, -v91
	;; [unrolled: 1-line block ×4, first 2 shown]
	v_sub_f32_e32 v13, v72, v13
	v_sub_f32_e32 v54, v78, v14
	v_sub_f32_e32 v29, v11, v80
	v_sub_f32_e32 v31, v64, v31
	v_sub_f32_e32 v30, v12, v81
	v_sub_f32_e32 v32, v65, v32
	v_sub_f32_e32 v33, v15, v84
	v_sub_f32_e32 v63, v66, v17
	v_sub_f32_e32 v49, v16, v85
	v_sub_f32_e32 v50, v19, v88
	v_sub_f32_e32 v51, v20, v89
	v_sub_f32_e32 v52, v9, v92
	v_sub_f32_e32 v53, v73, v93
	v_sub_f32_e32 v80, v67, v18
	v_sub_f32_e32 v81, v68, v21
	v_sub_f32_e32 v82, v69, v22
	v_sub_f32_e32 v83, v62, v10
	v_sub_f32_e32 v84, v79, v28
	v_fma_f32 v10, v72, 2.0, -v13
	v_fma_f32 v72, v78, 2.0, -v54
	;; [unrolled: 1-line block ×18, first 2 shown]
	ds_write2_b32 v56, v10, v13 offset1:4
	ds_write2_b32 v70, v11, v29 offset1:4
	;; [unrolled: 1-line block ×9, first 2 shown]
	s_waitcnt lgkmcnt(0)
	s_barrier
	buffer_gl0_inv
	ds_read2_b32 v[9:10], v40 offset0:16 offset1:240
	ds_read2_b32 v[11:12], v60 offset0:112 offset1:224
	ds_read_b32 v78, v61
	ds_read_b32 v79, v41
	ds_read2_b32 v[13:14], v43 offset0:96 offset1:208
	ds_read2_b32 v[15:16], v36 offset0:80 offset1:192
	;; [unrolled: 1-line block ×5, first 2 shown]
	ds_read2_b32 v[28:29], v44 offset1:112
	s_waitcnt lgkmcnt(0)
	s_barrier
	buffer_gl0_inv
	ds_write2_b32 v56, v72, v54 offset1:4
	ds_write2_b32 v70, v64, v31 offset1:4
	;; [unrolled: 1-line block ×9, first 2 shown]
	s_waitcnt lgkmcnt(0)
	s_barrier
	buffer_gl0_inv
	global_load_dwordx2 v[30:31], v39, s[8:9] offset:48
	v_and_or_b32 v32, 0xf0, v0, v35
	v_and_or_b32 v33, 0x1f0, v2, v35
	;; [unrolled: 1-line block ×5, first 2 shown]
	v_lshl_add_u32 v56, v32, 2, v46
	v_lshl_add_u32 v70, v33, 2, v46
	ds_read2_b32 v[32:33], v43 offset0:96 offset1:208
	v_and_or_b32 v52, 0x5f0, v6, v35
	v_and_or_b32 v53, 0x7f0, v7, v35
	v_lshl_add_u32 v71, v49, 2, v46
	v_lshl_add_u32 v72, v50, 2, v46
	ds_read2_b32 v[49:50], v42 offset0:64 offset1:176
	v_lshl_add_u32 v73, v51, 2, v46
	v_lshl_add_u32 v74, v52, 2, v46
	ds_read2_b32 v[51:52], v55 offset0:32 offset1:144
	v_lshl_add_u32 v75, v53, 2, v46
	ds_read2_b32 v[53:54], v44 offset1:112
	ds_read2_b32 v[62:63], v40 offset0:16 offset1:240
	ds_read_b32 v76, v61
	ds_read_b32 v77, v41
	ds_read2_b32 v[64:65], v60 offset0:112 offset1:224
	ds_read2_b32 v[66:67], v36 offset0:80 offset1:192
	;; [unrolled: 1-line block ×3, first 2 shown]
	v_and_b32_e32 v23, 15, v57
	v_and_or_b32 v37, 0x7f0, v1, v35
	v_and_or_b32 v35, 0x7f0, v8, v35
	s_waitcnt vmcnt(0) lgkmcnt(0)
	s_barrier
	v_lshlrev_b32_e32 v39, 3, v23
	v_lshl_add_u32 v37, v37, 2, v46
	v_lshl_add_u32 v35, v35, 2, v46
	buffer_gl0_inv
	v_and_or_b32 v0, 0xe0, v0, v23
	v_mul_f32_e32 v80, v32, v31
	v_mul_f32_e32 v81, v33, v31
	;; [unrolled: 1-line block ×5, first 2 shown]
	v_fmac_f32_e32 v80, v13, v30
	v_fmac_f32_e32 v81, v14, v30
	v_mul_f32_e32 v13, v63, v31
	v_mul_f32_e32 v14, v10, v31
	;; [unrolled: 1-line block ×13, first 2 shown]
	v_fmac_f32_e32 v13, v10, v30
	v_fma_f32 v14, v63, v30, -v14
	v_fma_f32 v31, v32, v30, -v82
	;; [unrolled: 1-line block ×3, first 2 shown]
	v_fmac_f32_e32 v84, v17, v30
	v_fma_f32 v17, v49, v30, -v86
	v_fmac_f32_e32 v85, v18, v30
	v_fma_f32 v18, v50, v30, -v87
	v_fmac_f32_e32 v88, v21, v30
	v_fmac_f32_e32 v89, v22, v30
	;; [unrolled: 1-line block ×4, first 2 shown]
	v_fma_f32 v21, v51, v30, -v90
	v_fma_f32 v22, v52, v30, -v91
	;; [unrolled: 1-line block ×4, first 2 shown]
	v_sub_f32_e32 v13, v78, v13
	v_sub_f32_e32 v54, v76, v14
	;; [unrolled: 1-line block ×18, first 2 shown]
	v_fma_f32 v10, v78, 2.0, -v13
	v_fma_f32 v76, v76, 2.0, -v54
	v_fma_f32 v11, v11, 2.0, -v29
	v_fma_f32 v64, v64, 2.0, -v31
	v_fma_f32 v12, v12, 2.0, -v30
	v_fma_f32 v65, v65, 2.0, -v32
	v_fma_f32 v14, v15, 2.0, -v33
	v_fma_f32 v66, v66, 2.0, -v63
	v_fma_f32 v15, v16, 2.0, -v49
	v_fma_f32 v16, v19, 2.0, -v50
	v_fma_f32 v17, v20, 2.0, -v51
	v_fma_f32 v9, v9, 2.0, -v52
	v_fma_f32 v18, v79, 2.0, -v53
	v_fma_f32 v67, v67, 2.0, -v80
	v_fma_f32 v68, v68, 2.0, -v81
	v_fma_f32 v69, v69, 2.0, -v82
	v_fma_f32 v62, v62, 2.0, -v83
	v_fma_f32 v77, v77, 2.0, -v84
	ds_write2_b32 v56, v10, v13 offset1:8
	ds_write2_b32 v70, v11, v29 offset1:8
	;; [unrolled: 1-line block ×9, first 2 shown]
	s_waitcnt lgkmcnt(0)
	s_barrier
	buffer_gl0_inv
	ds_read2_b32 v[9:10], v40 offset0:16 offset1:240
	ds_read2_b32 v[11:12], v60 offset0:112 offset1:224
	ds_read_b32 v78, v61
	ds_read_b32 v79, v41
	ds_read2_b32 v[13:14], v43 offset0:96 offset1:208
	ds_read2_b32 v[15:16], v36 offset0:80 offset1:192
	;; [unrolled: 1-line block ×5, first 2 shown]
	ds_read2_b32 v[28:29], v44 offset1:112
	s_waitcnt lgkmcnt(0)
	s_barrier
	buffer_gl0_inv
	ds_write2_b32 v56, v76, v54 offset1:8
	ds_write2_b32 v70, v64, v31 offset1:8
	;; [unrolled: 1-line block ×9, first 2 shown]
	s_waitcnt lgkmcnt(0)
	s_barrier
	buffer_gl0_inv
	global_load_dwordx2 v[30:31], v39, s[8:9] offset:112
	v_and_or_b32 v32, 0x7e0, v1, v23
	v_and_or_b32 v1, 0x1e0, v2, v23
	;; [unrolled: 1-line block ×8, first 2 shown]
	v_lshl_add_u32 v63, v0, 2, v46
	v_lshl_add_u32 v64, v1, 2, v46
	ds_read2_b32 v[0:1], v43 offset0:96 offset1:208
	v_lshl_add_u32 v65, v2, 2, v46
	v_lshl_add_u32 v66, v3, 2, v46
	;; [unrolled: 1-line block ×3, first 2 shown]
	ds_read2_b32 v[2:3], v42 offset0:64 offset1:176
	v_lshl_add_u32 v68, v5, 2, v46
	ds_read2_b32 v[4:5], v55 offset0:32 offset1:144
	v_lshl_add_u32 v69, v6, 2, v46
	v_lshl_add_u32 v70, v7, 2, v46
	;; [unrolled: 1-line block ×3, first 2 shown]
	ds_read2_b32 v[6:7], v44 offset1:112
	ds_read2_b32 v[32:33], v40 offset0:16 offset1:240
	ds_read_b32 v8, v61
	ds_read_b32 v23, v41
	ds_read2_b32 v[49:50], v60 offset0:112 offset1:224
	ds_read2_b32 v[51:52], v36 offset0:80 offset1:192
	;; [unrolled: 1-line block ×3, first 2 shown]
	v_and_b32_e32 v39, 31, v45
	v_and_b32_e32 v37, 31, v57
	s_waitcnt vmcnt(0) lgkmcnt(0)
	s_barrier
	buffer_gl0_inv
	v_lshlrev_b32_e32 v62, 4, v39
	v_lshlrev_b32_e32 v56, 4, v37
	v_mul_f32_e32 v35, v0, v31
	v_mul_f32_e32 v72, v1, v31
	;; [unrolled: 1-line block ×18, first 2 shown]
	v_fmac_f32_e32 v35, v13, v30
	v_fma_f32 v0, v0, v30, -v73
	v_fmac_f32_e32 v72, v14, v30
	v_fmac_f32_e32 v89, v10, v30
	v_fma_f32 v10, v33, v30, -v31
	v_fma_f32 v1, v1, v30, -v74
	v_fmac_f32_e32 v75, v17, v30
	v_fma_f32 v2, v2, v30, -v77
	v_fmac_f32_e32 v76, v18, v30
	;; [unrolled: 2-line block ×3, first 2 shown]
	v_fmac_f32_e32 v82, v22, v30
	v_fmac_f32_e32 v85, v28, v30
	;; [unrolled: 1-line block ×3, first 2 shown]
	v_fma_f32 v4, v4, v30, -v83
	v_fma_f32 v5, v5, v30, -v84
	;; [unrolled: 1-line block ×4, first 2 shown]
	v_sub_f32_e32 v13, v78, v89
	v_sub_f32_e32 v30, v8, v10
	;; [unrolled: 1-line block ×18, first 2 shown]
	v_fma_f32 v31, v78, 2.0, -v13
	v_fma_f32 v33, v8, 2.0, -v30
	;; [unrolled: 1-line block ×18, first 2 shown]
	ds_write2_b32 v63, v31, v13 offset1:16
	ds_write2_b32 v64, v11, v14 offset1:16
	;; [unrolled: 1-line block ×9, first 2 shown]
	s_waitcnt lgkmcnt(0)
	s_barrier
	buffer_gl0_inv
	ds_read2_b32 v[8:9], v34 offset0:48 offset1:160
	ds_read2_b32 v[16:17], v42 offset0:64 offset1:176
	;; [unrolled: 1-line block ×4, first 2 shown]
	ds_read_b32 v35, v61
	ds_read_b32 v49, v41
	ds_read2_b32 v[22:23], v55 offset0:32 offset1:144
	ds_read2_b32 v[12:13], v36 offset0:80 offset1:192
	;; [unrolled: 1-line block ×3, first 2 shown]
	ds_read2_b32 v[20:21], v44 offset1:112
	s_waitcnt lgkmcnt(0)
	s_barrier
	buffer_gl0_inv
	ds_write2_b32 v63, v33, v30 offset1:16
	ds_write2_b32 v64, v72, v0 offset1:16
	;; [unrolled: 1-line block ×9, first 2 shown]
	s_waitcnt lgkmcnt(0)
	s_barrier
	buffer_gl0_inv
	s_clause 0x1
	global_load_dwordx4 v[4:7], v62, s[8:9] offset:240
	global_load_dwordx4 v[0:3], v56, s[8:9] offset:240
	v_and_b32_e32 v52, 31, v48
	v_and_b32_e32 v56, 31, v59
	v_lshrrev_b32_e32 v53, 5, v57
	v_add_nc_u32_e32 v63, 0xffffffa0, v57
	v_mov_b32_e32 v62, 0xaaab
	v_lshlrev_b32_e32 v32, 4, v52
	s_clause 0x3
	global_load_dword v50, v32, s[8:9] offset:252
	global_load_dwordx2 v[28:29], v32, s[8:9] offset:248
	global_load_dwordx2 v[30:31], v32, s[8:9] offset:244
	;; [unrolled: 1-line block ×3, first 2 shown]
	v_lshlrev_b32_e32 v51, 4, v56
	v_mul_u32_u24_e32 v53, 0x60, v53
	v_lshrrev_b32_e32 v68, 5, v48
	v_cndmask_b32_e64 v93, v63, v57, s0
	v_and_b32_e32 v63, 0xff, v59
	global_load_dword v51, v51, s[8:9] offset:240
	v_lshrrev_b32_e32 v64, 5, v59
	v_lshrrev_b32_e32 v65, 5, v58
	;; [unrolled: 1-line block ×4, first 2 shown]
	v_mul_u32_u24_sdwa v69, v47, v62 dst_sel:DWORD dst_unused:UNUSED_PAD src0_sel:WORD_0 src1_sel:DWORD
	v_mov_b32_e32 v54, 0
	v_mul_u32_u24_sdwa v70, v48, v62 dst_sel:DWORD dst_unused:UNUSED_PAD src0_sel:WORD_0 src1_sel:DWORD
	v_or_b32_e32 v72, v53, v37
	v_mul_u32_u24_e32 v68, 0x60, v68
	v_lshlrev_b32_e32 v53, 1, v93
	v_mul_lo_u16 v63, 0xab, v63
	v_mul_u32_u24_sdwa v71, v45, v62 dst_sel:DWORD dst_unused:UNUSED_PAD src0_sel:WORD_0 src1_sel:DWORD
	v_mul_u32_u24_sdwa v62, v58, v62 dst_sel:DWORD dst_unused:UNUSED_PAD src0_sel:WORD_0 src1_sel:DWORD
	v_mul_u32_u24_e32 v64, 0x60, v64
	v_mul_u32_u24_e32 v65, 0x60, v65
	;; [unrolled: 1-line block ×4, first 2 shown]
	v_lshrrev_b32_e32 v94, 22, v69
	v_lshrrev_b32_e32 v95, 22, v70
	v_or_b32_e32 v68, v68, v52
	v_lshlrev_b64 v[52:53], 3, v[53:54]
	v_lshrrev_b16 v54, 14, v63
	v_lshrrev_b32_e32 v97, 22, v62
	v_or_b32_e32 v56, v64, v56
	v_or_b32_e32 v69, v65, v37
	;; [unrolled: 1-line block ×4, first 2 shown]
	v_mul_lo_u16 v70, 0x60, v94
	ds_read2_b32 v[62:63], v40 offset0:16 offset1:240
	ds_read2_b32 v[64:65], v55 offset0:32 offset1:144
	v_lshrrev_b32_e32 v96, 22, v71
	v_mul_lo_u16 v71, 0x60, v95
	v_lshl_add_u32 v77, v68, 2, v46
	v_mul_lo_u16 v68, 0x60, v54
	v_lshl_add_u32 v74, v72, 2, v46
	v_lshl_add_u32 v56, v56, 2, v46
	;; [unrolled: 1-line block ×5, first 2 shown]
	ds_read2_b32 v[66:67], v34 offset0:48 offset1:160
	v_sub_nc_u16 v98, v47, v70
	ds_read_b32 v78, v41
	ds_read2_b32 v[46:47], v42 offset0:64 offset1:176
	v_sub_nc_u16 v48, v48, v71
	v_sub_nc_u16 v99, v59, v68
	ds_read2_b32 v[68:69], v43 offset0:96 offset1:208
	ds_read2_b32 v[70:71], v44 offset1:112
	ds_read_b32 v81, v61
	ds_read2_b32 v[72:73], v60 offset0:112 offset1:224
	v_mov_b32_e32 v75, 4
	v_lshlrev_b32_sdwa v80, v75, v48 dst_sel:DWORD dst_unused:UNUSED_PAD src0_sel:DWORD src1_sel:WORD_0
	v_lshlrev_b32_sdwa v79, v75, v98 dst_sel:DWORD dst_unused:UNUSED_PAD src0_sel:DWORD src1_sel:WORD_0
	s_waitcnt vmcnt(6) lgkmcnt(8)
	v_mul_f32_e32 v82, v63, v5
	v_mul_f32_e32 v5, v15, v5
	s_waitcnt lgkmcnt(7)
	v_mul_f32_e32 v83, v65, v7
	v_mul_f32_e32 v7, v23, v7
	s_waitcnt vmcnt(5)
	v_mul_f32_e32 v84, v64, v3
	v_mul_f32_e32 v85, v22, v3
	s_waitcnt lgkmcnt(6)
	v_mul_f32_e32 v86, v67, v1
	v_fmac_f32_e32 v82, v15, v4
	v_fma_f32 v4, v63, v4, -v5
	v_fmac_f32_e32 v83, v23, v6
	v_fma_f32 v5, v65, v6, -v7
	s_waitcnt lgkmcnt(5)
	v_mul_f32_e32 v6, v78, v1
	v_mul_f32_e32 v7, v9, v1
	s_waitcnt lgkmcnt(4)
	v_mul_f32_e32 v15, v46, v3
	v_mul_f32_e32 v23, v16, v3
	v_fmac_f32_e32 v84, v22, v2
	v_mul_f32_e32 v22, v49, v1
	s_waitcnt lgkmcnt(3)
	v_mul_f32_e32 v63, v68, v1
	v_mul_f32_e32 v1, v18, v1
	s_waitcnt lgkmcnt(2)
	v_mul_f32_e32 v65, v70, v3
	v_mul_f32_e32 v3, v20, v3
	v_fma_f32 v64, v64, v2, -v85
	v_fmac_f32_e32 v6, v49, v0
	v_fmac_f32_e32 v86, v9, v0
	v_fma_f32 v7, v67, v0, -v7
	v_fmac_f32_e32 v15, v16, v2
	v_fma_f32 v9, v46, v2, -v23
	v_fma_f32 v16, v78, v0, -v22
	v_fmac_f32_e32 v63, v18, v0
	v_fma_f32 v18, v68, v0, -v1
	v_fmac_f32_e32 v65, v20, v2
	v_fma_f32 v2, v70, v2, -v3
	ds_read2_b32 v[0:1], v36 offset0:80 offset1:192
	s_waitcnt vmcnt(4)
	v_mul_f32_e32 v3, v71, v50
	v_mul_f32_e32 v20, v21, v50
	s_waitcnt vmcnt(3)
	v_mul_f32_e32 v22, v47, v29
	v_mul_f32_e32 v23, v17, v29
	s_waitcnt vmcnt(2)
	v_mul_f32_e32 v29, v19, v30
	v_fmac_f32_e32 v3, v21, v28
	v_fma_f32 v20, v71, v28, -v20
	s_waitcnt vmcnt(1)
	v_mul_f32_e32 v28, v62, v33
	v_mul_f32_e32 v21, v69, v30
	;; [unrolled: 1-line block ×3, first 2 shown]
	v_fmac_f32_e32 v22, v17, v31
	v_fma_f32 v17, v47, v31, -v23
	s_waitcnt vmcnt(0)
	v_fmac_f32_e32 v28, v14, v51
	v_add_f32_e32 v23, v86, v15
	v_fma_f32 v14, v62, v51, -v30
	v_fmac_f32_e32 v21, v19, v32
	v_fma_f32 v19, v69, v32, -v29
	v_add_f32_e32 v29, v35, v86
	v_add_f32_e32 v31, v10, v28
	v_sub_f32_e32 v30, v7, v9
	v_add_f32_e32 v32, v28, v22
	v_add_f32_e32 v46, v6, v84
	;; [unrolled: 1-line block ×3, first 2 shown]
	s_waitcnt lgkmcnt(2)
	v_add_f32_e32 v68, v81, v7
	v_add_f32_e32 v7, v7, v9
	v_sub_f32_e32 v33, v14, v17
	v_fmac_f32_e32 v35, -0.5, v23
	s_waitcnt lgkmcnt(1)
	v_add_f32_e32 v23, v72, v14
	v_add_f32_e32 v14, v14, v17
	v_sub_f32_e32 v49, v16, v64
	v_sub_f32_e32 v62, v4, v5
	v_sub_f32_e32 v67, v86, v15
	v_add_f32_e32 v69, v63, v65
	v_add_f32_e32 v71, v21, v3
	v_sub_f32_e32 v28, v28, v22
	v_add_f32_e32 v15, v29, v15
	v_add_f32_e32 v29, v73, v16
	;; [unrolled: 1-line block ×4, first 2 shown]
	s_waitcnt lgkmcnt(0)
	v_add_f32_e32 v31, v0, v4
	v_add_f32_e32 v4, v4, v5
	;; [unrolled: 1-line block ×3, first 2 shown]
	v_sub_f32_e32 v85, v18, v2
	v_sub_f32_e32 v86, v19, v20
	;; [unrolled: 1-line block ×3, first 2 shown]
	v_fmac_f32_e32 v11, -0.5, v46
	v_add_f32_e32 v46, v1, v18
	v_add_f32_e32 v18, v18, v2
	;; [unrolled: 1-line block ×5, first 2 shown]
	v_fma_f32 v10, -0.5, v32, v10
	v_fmac_f32_e32 v81, -0.5, v7
	v_fma_f32 v14, -0.5, v14, v72
	v_add_f32_e32 v50, v12, v82
	v_add_f32_e32 v70, v13, v63
	;; [unrolled: 1-line block ×3, first 2 shown]
	v_sub_f32_e32 v82, v82, v83
	v_fmac_f32_e32 v13, -0.5, v69
	v_fmac_f32_e32 v8, -0.5, v71
	;; [unrolled: 1-line block ×3, first 2 shown]
	v_fma_f32 v0, -0.5, v4, v0
	v_sub_f32_e32 v63, v63, v65
	v_sub_f32_e32 v21, v21, v3
	v_fma_f32 v12, -0.5, v51, v12
	v_add_f32_e32 v9, v68, v9
	v_fmac_f32_e32 v1, -0.5, v18
	v_fmac_f32_e32 v66, -0.5, v19
	v_fmamk_f32 v16, v30, 0xbf5db3d7, v35
	v_fmamk_f32 v18, v33, 0xbf5db3d7, v10
	v_fmac_f32_e32 v10, 0x3f5db3d7, v33
	v_fmamk_f32 v33, v67, 0x3f5db3d7, v81
	v_fmac_f32_e32 v35, 0x3f5db3d7, v30
	v_fmac_f32_e32 v81, 0xbf5db3d7, v67
	v_add_f32_e32 v17, v23, v17
	v_fmamk_f32 v19, v49, 0xbf5db3d7, v11
	v_fmac_f32_e32 v11, 0x3f5db3d7, v49
	v_fmamk_f32 v49, v28, 0x3f5db3d7, v14
	v_fmac_f32_e32 v14, 0xbf5db3d7, v28
	v_add_f32_e32 v32, v50, v83
	v_add_f32_e32 v23, v29, v64
	v_fmamk_f32 v29, v85, 0xbf5db3d7, v13
	v_fmamk_f32 v30, v86, 0xbf5db3d7, v8
	v_fmamk_f32 v50, v6, 0x3f5db3d7, v73
	v_fmac_f32_e32 v73, 0xbf5db3d7, v6
	v_fmamk_f32 v6, v82, 0x3f5db3d7, v0
	v_fmac_f32_e32 v0, 0xbf5db3d7, v82
	s_barrier
	buffer_gl0_inv
	v_add_f32_e32 v7, v70, v65
	v_add_f32_e32 v3, v78, v3
	;; [unrolled: 1-line block ×5, first 2 shown]
	v_fmamk_f32 v20, v62, 0xbf5db3d7, v12
	v_fmac_f32_e32 v12, 0x3f5db3d7, v62
	v_fmac_f32_e32 v13, 0x3f5db3d7, v85
	;; [unrolled: 1-line block ×3, first 2 shown]
	v_fmamk_f32 v51, v63, 0x3f5db3d7, v1
	v_fmac_f32_e32 v1, 0xbf5db3d7, v63
	v_fmamk_f32 v62, v21, 0x3f5db3d7, v66
	v_fmac_f32_e32 v66, 0xbf5db3d7, v21
	ds_write2_b32 v74, v15, v16 offset1:32
	ds_write_b32 v74, v35 offset:256
	ds_write2_b32 v56, v22, v18 offset1:32
	ds_write_b32 v56, v10 offset:256
	;; [unrolled: 2-line block ×6, first 2 shown]
	s_waitcnt lgkmcnt(0)
	s_barrier
	buffer_gl0_inv
	ds_read2_b32 v[30:31], v34 offset0:48 offset1:160
	ds_read2_b32 v[83:84], v42 offset0:64 offset1:176
	;; [unrolled: 1-line block ×3, first 2 shown]
	ds_read_b32 v100, v61
	ds_read_b32 v101, v41
	ds_read2_b32 v[87:88], v40 offset0:16 offset1:240
	ds_read2_b32 v[89:90], v55 offset0:32 offset1:144
	;; [unrolled: 1-line block ×4, first 2 shown]
	ds_read2_b32 v[91:92], v44 offset1:112
	s_waitcnt lgkmcnt(0)
	s_barrier
	buffer_gl0_inv
	ds_write2_b32 v74, v9, v33 offset1:32
	ds_write_b32 v74, v81 offset:256
	ds_write2_b32 v56, v17, v49 offset1:32
	ds_write_b32 v56, v14 offset:256
	;; [unrolled: 2-line block ×6, first 2 shown]
	v_add_co_u32 v0, s0, s8, v52
	v_add_co_ci_u32_e64 v1, s0, s9, v53, s0
	v_mul_lo_u16 v2, 0x60, v96
	s_waitcnt lgkmcnt(0)
	s_barrier
	buffer_gl0_inv
	s_clause 0x1
	global_load_dwordx4 v[62:65], v80, s[8:9] offset:752
	global_load_dwordx4 v[66:69], v[0:1], off offset:752
	v_mul_lo_u16 v0, 0x60, v97
	v_sub_nc_u16 v1, v45, v2
	v_lshlrev_b32_sdwa v3, v75, v99 dst_sel:DWORD dst_unused:UNUSED_PAD src0_sel:DWORD src1_sel:BYTE_0
	global_load_dwordx4 v[18:21], v79, s[8:9] offset:752
	v_cmp_lt_u32_e64 s0, 0x5f, v57
	v_sub_nc_u16 v0, v58, v0
	v_lshlrev_b32_sdwa v2, v75, v1 dst_sel:DWORD dst_unused:UNUSED_PAD src0_sel:DWORD src1_sel:WORD_0
	global_load_dwordx4 v[71:74], v3, s[8:9] offset:752
	v_mov_b32_e32 v8, 2
	v_and_b32_e32 v11, 0xffff, v54
	v_lshlrev_b32_sdwa v3, v75, v0 dst_sel:DWORD dst_unused:UNUSED_PAD src0_sel:DWORD src1_sel:WORD_0
	s_clause 0x1
	global_load_dwordx4 v[75:78], v2, s[8:9] offset:752
	global_load_dwordx4 v[79:82], v3, s[8:9] offset:752
	v_cndmask_b32_e64 v2, 0, 0x480, s0
	v_lshlrev_b32_e32 v3, 2, v93
	v_mad_u32_u24 v12, 0x480, v94, 0
	ds_read2_b32 v[93:94], v43 offset0:96 offset1:208
	ds_read2_b32 v[34:35], v34 offset0:48 offset1:160
	v_add_nc_u32_e32 v2, 0, v2
	v_mad_u32_u24 v9, 0x480, v97, 0
	v_mad_u32_u24 v10, 0x480, v96, 0
	v_mad_u32_u24 v13, 0x480, v95, 0
	v_lshlrev_b32_sdwa v0, v8, v0 dst_sel:DWORD dst_unused:UNUSED_PAD src0_sel:DWORD src1_sel:WORD_0
	v_lshlrev_b32_sdwa v1, v8, v1 dst_sel:DWORD dst_unused:UNUSED_PAD src0_sel:DWORD src1_sel:WORD_0
	;; [unrolled: 1-line block ×4, first 2 shown]
	v_mad_u32_u24 v16, 0x480, v11, 0
	v_lshlrev_b32_sdwa v17, v8, v99 dst_sel:DWORD dst_unused:UNUSED_PAD src0_sel:DWORD src1_sel:BYTE_0
	ds_read2_b32 v[43:44], v44 offset1:112
	v_add3_u32 v2, v2, v3, v38
	v_add3_u32 v11, v9, v0, v38
	;; [unrolled: 1-line block ×6, first 2 shown]
	ds_read2_b32 v[37:38], v42 offset0:64 offset1:176
	ds_read2_b32 v[39:40], v40 offset0:16 offset1:240
	;; [unrolled: 1-line block ×3, first 2 shown]
	ds_read_b32 v41, v41
	ds_read_b32 v13, v61
	ds_read2_b32 v[0:1], v60 offset0:112 offset1:224
	ds_read2_b32 v[32:33], v36 offset0:80 offset1:192
	v_add_nc_u32_e32 v3, 0x100, v60
	v_add_nc_u32_e32 v4, 0x600, v60
	;; [unrolled: 1-line block ×5, first 2 shown]
	s_waitcnt vmcnt(0) lgkmcnt(0)
	s_barrier
	buffer_gl0_inv
	v_cmp_gt_u32_e64 s0, 64, v57
	v_mul_f32_e32 v15, v94, v63
	v_mul_f32_e32 v52, v35, v67
	;; [unrolled: 1-line block ×11, first 2 shown]
	v_fmac_f32_e32 v15, v47, v62
	v_mul_f32_e32 v45, v31, v67
	v_mul_f32_e32 v51, v83, v69
	v_fmac_f32_e32 v52, v31, v66
	v_mul_f32_e32 v22, v40, v76
	v_mul_f32_e32 v23, v96, v78
	;; [unrolled: 1-line block ×4, first 2 shown]
	v_fmac_f32_e32 v53, v83, v68
	v_mul_f32_e32 v54, v84, v74
	v_fmac_f32_e32 v14, v46, v18
	v_fma_f32 v19, v93, v18, -v19
	v_fma_f32 v18, v43, v20, -v21
	v_mul_f32_e32 v43, v87, v72
	v_fma_f32 v21, v94, v62, -v36
	v_mul_f32_e32 v36, v89, v82
	v_fmac_f32_e32 v49, v84, v73
	v_fmac_f32_e32 v50, v87, v71
	;; [unrolled: 1-line block ×3, first 2 shown]
	v_mul_f32_e32 v46, v88, v76
	v_mul_f32_e32 v63, v90, v78
	;; [unrolled: 1-line block ×3, first 2 shown]
	v_fmac_f32_e32 v22, v88, v75
	v_fmac_f32_e32 v23, v90, v77
	;; [unrolled: 1-line block ×4, first 2 shown]
	v_mul_f32_e32 v42, v92, v65
	v_fmac_f32_e32 v17, v92, v64
	v_fma_f32 v70, v35, v66, -v45
	v_fma_f32 v67, v37, v68, -v51
	v_add_f32_e32 v35, v52, v53
	v_fma_f32 v56, v38, v73, -v54
	v_fma_f32 v69, v39, v71, -v43
	;; [unrolled: 1-line block ×3, first 2 shown]
	v_add_f32_e32 v36, v100, v52
	v_add_f32_e32 v38, v50, v49
	v_fma_f32 v51, v40, v75, -v46
	v_fma_f32 v31, v96, v77, -v63
	v_fma_f32 v68, v41, v79, -v62
	v_add_f32_e32 v41, v47, v48
	v_add_f32_e32 v45, v22, v23
	;; [unrolled: 1-line block ×3, first 2 shown]
	v_fma_f32 v20, v44, v64, -v42
	v_sub_f32_e32 v37, v70, v67
	v_add_f32_e32 v44, v28, v22
	v_add_f32_e32 v63, v15, v17
	v_fmac_f32_e32 v100, -0.5, v35
	v_add_f32_e32 v39, v85, v50
	v_sub_f32_e32 v40, v69, v56
	v_add_f32_e32 v35, v36, v53
	v_fma_f32 v36, -0.5, v38, v85
	v_add_f32_e32 v42, v86, v47
	v_sub_f32_e32 v43, v68, v54
	v_sub_f32_e32 v46, v51, v31
	v_add_f32_e32 v64, v29, v14
	v_sub_f32_e32 v66, v19, v18
	v_fmac_f32_e32 v86, -0.5, v41
	v_fma_f32 v28, -0.5, v45, v28
	v_fmac_f32_e32 v29, -0.5, v62
	v_add_f32_e32 v65, v30, v15
	v_sub_f32_e32 v71, v21, v20
	v_add_f32_e32 v41, v44, v23
	v_fmac_f32_e32 v30, -0.5, v63
	v_fmamk_f32 v44, v37, 0xbf5db3d7, v100
	v_fmac_f32_e32 v100, 0x3f5db3d7, v37
	v_add_f32_e32 v38, v39, v49
	v_fmamk_f32 v37, v40, 0xbf5db3d7, v36
	v_fmac_f32_e32 v36, 0x3f5db3d7, v40
	v_add_f32_e32 v39, v42, v48
	v_add_f32_e32 v42, v64, v16
	v_fmamk_f32 v40, v43, 0xbf5db3d7, v86
	v_fmac_f32_e32 v86, 0x3f5db3d7, v43
	v_fmamk_f32 v43, v46, 0xbf5db3d7, v28
	v_fmac_f32_e32 v28, 0x3f5db3d7, v46
	v_fmamk_f32 v45, v66, 0xbf5db3d7, v29
	v_add_f32_e32 v62, v65, v17
	v_fmac_f32_e32 v29, 0x3f5db3d7, v66
	v_fmamk_f32 v63, v71, 0xbf5db3d7, v30
	v_fmac_f32_e32 v30, 0x3f5db3d7, v71
	ds_write2_b32 v2, v35, v44 offset1:96
	ds_write_b32 v2, v100 offset:768
	ds_write2_b32 v12, v38, v37 offset1:96
	ds_write_b32 v12, v36 offset:768
	;; [unrolled: 2-line block ×6, first 2 shown]
	s_waitcnt lgkmcnt(0)
	s_barrier
	buffer_gl0_inv
	ds_read2_b32 v[35:36], v3 offset0:48 offset1:224
	ds_read_b32 v28, v61
	ds_read_b32 v71, v60 offset:7360
	ds_read2_b32 v[37:38], v4 offset0:16 offset1:192
	ds_read2_b32 v[39:40], v5 offset0:48 offset1:224
	;; [unrolled: 1-line block ×5, first 2 shown]
                                        ; implicit-def: $vgpr65
                                        ; implicit-def: $vgpr66
                                        ; implicit-def: $vgpr64
	s_and_saveexec_b32 s1, s0
	s_cbranch_execz .LBB0_15
; %bb.14:
	ds_read_b32 v29, v60 offset:896
	ds_read_b32 v62, v60 offset:2048
	;; [unrolled: 1-line block ×7, first 2 shown]
.LBB0_15:
	s_or_b32 exec_lo, exec_lo, s1
	v_add_f32_e32 v72, v70, v67
	v_sub_f32_e32 v52, v52, v53
	v_add_f32_e32 v53, v69, v56
	v_add_f32_e32 v70, v13, v70
	;; [unrolled: 1-line block ×3, first 2 shown]
	v_fmac_f32_e32 v13, -0.5, v72
	v_sub_f32_e32 v49, v50, v49
	v_fma_f32 v0, -0.5, v53, v0
	v_add_f32_e32 v50, v70, v67
	v_add_f32_e32 v67, v1, v68
	v_fmamk_f32 v53, v52, 0x3f5db3d7, v13
	v_fmac_f32_e32 v13, 0xbf5db3d7, v52
	v_add_f32_e32 v52, v69, v56
	v_add_f32_e32 v56, v68, v54
	v_fmamk_f32 v69, v49, 0x3f5db3d7, v0
	v_fmac_f32_e32 v0, 0xbf5db3d7, v49
	v_add_f32_e32 v49, v51, v31
	v_sub_f32_e32 v47, v47, v48
	v_fmac_f32_e32 v1, -0.5, v56
	v_add_f32_e32 v51, v32, v51
	v_sub_f32_e32 v22, v22, v23
	v_fma_f32 v32, -0.5, v49, v32
	v_sub_f32_e32 v14, v14, v16
	v_fmamk_f32 v23, v47, 0x3f5db3d7, v1
	v_fmac_f32_e32 v1, 0xbf5db3d7, v47
	v_add_f32_e32 v47, v19, v18
	v_fmamk_f32 v49, v22, 0x3f5db3d7, v32
	v_fmac_f32_e32 v32, 0xbf5db3d7, v22
	v_add_f32_e32 v22, v21, v20
	v_add_f32_e32 v19, v33, v19
	v_fmac_f32_e32 v33, -0.5, v47
	v_add_f32_e32 v16, v34, v21
	v_sub_f32_e32 v15, v15, v17
	v_fmac_f32_e32 v34, -0.5, v22
	v_add_f32_e32 v48, v67, v54
	v_add_f32_e32 v31, v51, v31
	;; [unrolled: 1-line block ×3, first 2 shown]
	v_fmamk_f32 v18, v14, 0x3f5db3d7, v33
	v_fmac_f32_e32 v33, 0xbf5db3d7, v14
	v_add_f32_e32 v67, v16, v20
	v_fmamk_f32 v68, v15, 0x3f5db3d7, v34
	v_fmac_f32_e32 v34, 0xbf5db3d7, v15
	s_waitcnt lgkmcnt(0)
	s_barrier
	buffer_gl0_inv
	ds_write2_b32 v2, v50, v53 offset1:96
	ds_write_b32 v2, v13 offset:768
	ds_write2_b32 v12, v52, v69 offset1:96
	ds_write_b32 v12, v0 offset:768
	;; [unrolled: 2-line block ×6, first 2 shown]
	s_waitcnt lgkmcnt(0)
	s_barrier
	buffer_gl0_inv
	ds_read2_b32 v[31:32], v3 offset0:48 offset1:224
	ds_read2_b32 v[47:48], v4 offset0:16 offset1:192
	ds_read2_b32 v[49:50], v5 offset0:48 offset1:224
	ds_read2_b32 v[51:52], v6 offset0:16 offset1:192
	ds_read2_b32 v[53:54], v7 offset0:48 offset1:224
	ds_read2_b32 v[55:56], v55 offset0:16 offset1:192
	ds_read_b32 v72, v61
	ds_read_b32 v73, v60 offset:7360
                                        ; implicit-def: $vgpr61
                                        ; implicit-def: $vgpr70
                                        ; implicit-def: $vgpr69
	s_and_saveexec_b32 s1, s0
	s_cbranch_execz .LBB0_17
; %bb.16:
	ds_read_b32 v33, v60 offset:896
	ds_read_b32 v67, v60 offset:2048
	;; [unrolled: 1-line block ×7, first 2 shown]
.LBB0_17:
	s_or_b32 exec_lo, exec_lo, s1
	s_and_saveexec_b32 s1, vcc_lo
	s_cbranch_execz .LBB0_20
; %bb.18:
	v_mul_u32_u24_e32 v0, 6, v59
	v_mul_u32_u24_e32 v1, 6, v57
	v_add_nc_u32_e32 v78, 0x70, v57
	v_mul_lo_u32 v74, s3, v26
	v_mul_lo_u32 v76, s2, v27
	v_lshlrev_b32_e32 v0, 3, v0
	v_lshlrev_b32_e32 v1, 3, v1
	v_mad_u64_u32 v[59:60], null, s2, v26, 0
	v_mul_hi_u32 v79, 0x38e38e39, v57
	v_add_co_u32 v8, s1, s8, v0
	v_add_co_ci_u32_e64 v9, null, s9, 0, s1
	v_add_co_u32 v10, s1, s8, v1
	v_add_co_ci_u32_e64 v11, null, s9, 0, s1
	v_add_co_u32 v0, vcc_lo, 0x8f0, v8
	v_add_co_ci_u32_e32 v1, vcc_lo, 0, v9, vcc_lo
	v_add_co_u32 v2, vcc_lo, 0x8f0, v10
	v_add_co_ci_u32_e32 v3, vcc_lo, 0, v11, vcc_lo
	s_clause 0x3
	global_load_dwordx4 v[20:23], v[0:1], off offset:32
	global_load_dwordx4 v[16:19], v[2:3], off offset:32
	;; [unrolled: 1-line block ×4, first 2 shown]
	v_add_co_u32 v0, vcc_lo, 0x800, v8
	v_add_co_ci_u32_e32 v1, vcc_lo, 0, v9, vcc_lo
	v_add_co_u32 v2, vcc_lo, 0x800, v10
	v_add_co_ci_u32_e32 v3, vcc_lo, 0, v11, vcc_lo
	s_clause 0x1
	global_load_dwordx4 v[8:11], v[0:1], off offset:240
	global_load_dwordx4 v[0:3], v[2:3], off offset:240
	v_mul_hi_u32 v80, 0x38e38e39, v78
	v_add3_u32 v60, v60, v76, v74
	v_lshrrev_b32_e32 v82, 6, v79
	v_lshlrev_b64 v[24:25], 3, v[24:25]
	v_mov_b32_e32 v26, 0
	v_add_nc_u32_e32 v27, 0xe0, v57
	v_lshlrev_b64 v[59:60], 3, v[59:60]
	v_mul_u32_u24_e32 v76, 0x120, v82
	v_lshrrev_b32_e32 v74, 6, v80
	v_mov_b32_e32 v75, v26
	v_mov_b32_e32 v77, v26
	;; [unrolled: 1-line block ×3, first 2 shown]
	v_add_co_u32 v59, s1, s14, v59
	v_mul_u32_u24_e32 v80, 0x120, v74
	v_sub_nc_u32_e32 v76, v57, v76
	v_add_co_ci_u32_e64 v60, s1, s15, v60, s1
	v_add_co_u32 v24, s1, v59, v24
	v_sub_nc_u32_e32 v78, v78, v80
	v_lshlrev_b32_e32 v76, 3, v76
	v_add_co_ci_u32_e64 v59, s1, v60, v25, s1
	v_mov_b32_e32 v81, v26
	v_mad_u32_u24 v25, 0x7e0, v74, v78
	v_add_co_u32 v84, s1, v24, v76
	v_add_co_ci_u32_e64 v85, s1, 0, v59, s1
	v_lshlrev_b64 v[86:87], 3, v[25:26]
	v_add_nc_u32_e32 v74, 0x120, v25
	v_add_nc_u32_e32 v76, 0x240, v25
	;; [unrolled: 1-line block ×6, first 2 shown]
	v_add_co_u32 v88, s1, 0x800, v84
	v_add_co_ci_u32_e64 v89, s1, 0, v85, s1
	v_lshlrev_b64 v[100:101], 3, v[25:26]
	v_add_co_u32 v90, s1, 0x1000, v84
	v_add_co_ci_u32_e64 v91, s1, 0, v85, s1
	v_add_co_u32 v92, s1, 0x1800, v84
	v_add_co_ci_u32_e64 v93, s1, 0, v85, s1
	;; [unrolled: 2-line block ×4, first 2 shown]
	v_add_co_u32 v98, s1, 0x3000, v84
	v_lshlrev_b64 v[74:75], 3, v[74:75]
	v_add_co_ci_u32_e64 v99, s1, 0, v85, s1
	v_lshlrev_b64 v[76:77], 3, v[76:77]
	v_add_co_u32 v86, s1, v24, v86
	v_add_co_ci_u32_e64 v87, s1, v59, v87, s1
	v_lshlrev_b64 v[78:79], 3, v[78:79]
	v_add_co_u32 v74, s1, v24, v74
	v_mov_b32_e32 v83, v26
	v_add_co_ci_u32_e64 v75, s1, v59, v75, s1
	v_lshlrev_b64 v[80:81], 3, v[80:81]
	v_add_co_u32 v76, s1, v24, v76
	v_add_co_ci_u32_e64 v77, s1, v59, v77, s1
	v_lshlrev_b64 v[82:83], 3, v[82:83]
	v_add_co_u32 v78, s1, v24, v78
	v_add_co_ci_u32_e64 v79, s1, v59, v79, s1
	v_add_co_u32 v80, s1, v24, v80
	v_add_co_ci_u32_e64 v81, s1, v59, v81, s1
	v_cmp_gt_u32_e32 vcc_lo, 0x120, v27
	v_add_co_u32 v82, s1, v24, v82
	v_add_co_ci_u32_e64 v83, s1, v59, v83, s1
	v_add_co_u32 v100, s1, v24, v100
	v_add_co_ci_u32_e64 v101, s1, v59, v101, s1
	s_waitcnt vmcnt(5) lgkmcnt(0)
	v_mul_f32_e32 v25, v73, v23
	v_mul_f32_e32 v23, v71, v23
	;; [unrolled: 1-line block ×4, first 2 shown]
	s_waitcnt vmcnt(4)
	v_mul_f32_e32 v102, v56, v19
	v_fmac_f32_e32 v25, v71, v22
	v_mul_f32_e32 v19, v46, v19
	v_fma_f32 v22, v73, v22, -v23
	v_mul_f32_e32 v23, v54, v17
	v_fmac_f32_e32 v60, v45, v20
	v_fma_f32 v20, v55, v20, -v21
	v_mul_f32_e32 v17, v44, v17
	s_waitcnt vmcnt(3)
	v_mul_f32_e32 v21, v53, v15
	v_mul_f32_e32 v15, v43, v15
	;; [unrolled: 1-line block ×3, first 2 shown]
	v_fmac_f32_e32 v102, v46, v18
	v_mul_f32_e32 v13, v41, v13
	s_waitcnt vmcnt(2)
	v_mul_f32_e32 v46, v52, v7
	v_fma_f32 v18, v56, v18, -v19
	v_mul_f32_e32 v7, v42, v7
	v_mul_f32_e32 v19, v50, v5
	v_fmac_f32_e32 v23, v44, v16
	v_fma_f32 v16, v54, v16, -v17
	v_mul_f32_e32 v5, v40, v5
	s_waitcnt vmcnt(1)
	v_mul_f32_e32 v17, v49, v11
	v_mul_f32_e32 v11, v39, v11
	;; [unrolled: 1-line block ×3, first 2 shown]
	v_fmac_f32_e32 v21, v43, v14
	v_mul_f32_e32 v9, v37, v9
	s_waitcnt vmcnt(0)
	v_mul_f32_e32 v43, v32, v1
	v_fma_f32 v14, v53, v14, -v15
	v_mul_f32_e32 v15, v48, v3
	v_mul_f32_e32 v1, v36, v1
	;; [unrolled: 1-line block ×3, first 2 shown]
	v_fmac_f32_e32 v45, v41, v12
	v_fma_f32 v12, v51, v12, -v13
	v_fmac_f32_e32 v46, v42, v6
	v_fma_f32 v6, v52, v6, -v7
	;; [unrolled: 2-line block ×5, first 2 shown]
	v_fmac_f32_e32 v43, v36, v0
	v_fmac_f32_e32 v15, v38, v2
	v_fma_f32 v0, v32, v0, -v1
	v_fma_f32 v1, v48, v2, -v3
	v_sub_f32_e32 v2, v44, v25
	v_sub_f32_e32 v3, v21, v45
	;; [unrolled: 1-line block ×3, first 2 shown]
	v_add_f32_e32 v9, v7, v22
	v_add_f32_e32 v10, v14, v12
	;; [unrolled: 1-line block ×6, first 2 shown]
	v_sub_f32_e32 v7, v7, v22
	v_sub_f32_e32 v12, v14, v12
	;; [unrolled: 1-line block ×6, first 2 shown]
	v_add_f32_e32 v25, v0, v18
	v_add_f32_e32 v32, v6, v4
	;; [unrolled: 1-line block ×6, first 2 shown]
	v_sub_f32_e32 v0, v0, v18
	v_sub_f32_e32 v4, v6, v4
	;; [unrolled: 1-line block ×5, first 2 shown]
	v_add_f32_e32 v3, v3, v8
	v_sub_f32_e32 v18, v9, v10
	v_sub_f32_e32 v23, v10, v11
	v_add_f32_e32 v38, v9, v11
	v_sub_f32_e32 v39, v13, v21
	v_sub_f32_e32 v40, v21, v17
	;; [unrolled: 3-line block ×4, first 2 shown]
	v_sub_f32_e32 v11, v17, v13
	v_sub_f32_e32 v5, v5, v7
	;; [unrolled: 1-line block ×4, first 2 shown]
	v_add_f32_e32 v20, v20, v22
	v_sub_f32_e32 v44, v25, v32
	v_sub_f32_e32 v45, v32, v36
	v_add_f32_e32 v46, v25, v36
	v_sub_f32_e32 v25, v36, v25
	v_add_f32_e32 v36, v37, v15
	v_sub_f32_e32 v47, v37, v19
	v_sub_f32_e32 v37, v15, v37
	;; [unrolled: 1-line block ×5, first 2 shown]
	v_add_f32_e32 v4, v4, v1
	v_sub_f32_e32 v22, v22, v14
	v_add_f32_e32 v10, v10, v38
	v_add_f32_e32 v21, v21, v41
	;; [unrolled: 1-line block ×4, first 2 shown]
	v_mul_f32_e32 v2, 0x3f08b237, v16
	v_add_f32_e32 v12, v14, v20
	v_mul_f32_e32 v3, 0x3f4a47b2, v18
	v_mul_f32_e32 v14, 0x3d64c772, v23
	v_add_f32_e32 v16, v32, v46
	v_mul_f32_e32 v23, 0x3d64c772, v40
	;; [unrolled: 3-line block ×3, first 2 shown]
	v_mul_f32_e32 v40, 0xbf5ff5aa, v5
	v_sub_f32_e32 v50, v1, v0
	v_mul_f32_e32 v20, 0x3f4a47b2, v39
	v_add_f32_e32 v4, v0, v4
	v_mul_f32_e32 v17, 0x3f08b237, v17
	v_mul_f32_e32 v41, 0x3f4a47b2, v44
	;; [unrolled: 1-line block ×6, first 2 shown]
	v_add_f32_e32 v1, v31, v10
	v_add_f32_e32 v0, v35, v21
	v_fmamk_f32 v18, v18, 0x3f4a47b2, v14
	v_fma_f32 v31, 0xbf3bfb3b, v9, -v3
	v_fma_f32 v9, 0x3f3bfb3b, v9, -v14
	;; [unrolled: 1-line block ×3, first 2 shown]
	v_fmamk_f32 v35, v6, 0xbeae86e6, v2
	v_fma_f32 v8, 0xbf5ff5aa, v8, -v2
	v_fma_f32 v36, 0x3eae86e6, v42, -v40
	v_fmamk_f32 v40, v42, 0xbeae86e6, v32
	v_fma_f32 v32, 0xbf5ff5aa, v5, -v32
	v_add_f32_e32 v3, v72, v16
	v_add_f32_e32 v2, v28, v19
	v_mul_f32_e32 v45, 0x3f4a47b2, v47
	v_mul_f32_e32 v51, 0xbf5ff5aa, v50
	v_fmamk_f32 v5, v39, 0x3f4a47b2, v23
	v_fma_f32 v6, 0xbf3bfb3b, v11, -v20
	v_fma_f32 v11, 0x3f3bfb3b, v11, -v23
	;; [unrolled: 1-line block ×3, first 2 shown]
	v_fmamk_f32 v28, v13, 0xbeae86e6, v17
	v_fmamk_f32 v13, v44, 0x3f4a47b2, v43
	v_fma_f32 v23, 0xbf3bfb3b, v25, -v41
	v_fma_f32 v22, 0xbf5ff5aa, v22, -v17
	v_fmamk_f32 v17, v47, 0x3f4a47b2, v15
	v_fmamk_f32 v41, v48, 0xbeae86e6, v46
	v_fmac_f32_e32 v40, 0xbee1c552, v7
	v_fmac_f32_e32 v36, 0xbee1c552, v7
	;; [unrolled: 1-line block ×3, first 2 shown]
	v_fmamk_f32 v7, v10, 0xbf955555, v1
	v_fmamk_f32 v10, v21, 0xbf955555, v0
	;; [unrolled: 1-line block ×4, first 2 shown]
	v_fma_f32 v25, 0x3f3bfb3b, v25, -v43
	v_fma_f32 v39, 0x3eae86e6, v48, -v51
	;; [unrolled: 1-line block ×5, first 2 shown]
	v_fmac_f32_e32 v35, 0xbee1c552, v38
	v_fmac_f32_e32 v14, 0xbee1c552, v38
	;; [unrolled: 1-line block ×7, first 2 shown]
	v_add_f32_e32 v12, v18, v7
	v_add_f32_e32 v18, v5, v10
	;; [unrolled: 1-line block ×8, first 2 shown]
	v_fmac_f32_e32 v39, 0xbee1c552, v4
	v_add_f32_e32 v23, v23, v16
	v_add_f32_e32 v42, v42, v19
	;; [unrolled: 1-line block ×3, first 2 shown]
	v_fmac_f32_e32 v43, 0xbee1c552, v4
	v_add_f32_e32 v25, v15, v19
	v_sub_f32_e32 v4, v31, v36
	v_sub_f32_e32 v7, v9, v8
	v_add_f32_e32 v6, v32, v10
	v_add_f32_e32 v9, v8, v9
	v_sub_f32_e32 v8, v10, v32
	v_add_f32_e32 v10, v36, v31
	v_sub_f32_e32 v32, v37, v28
	v_add_f32_e32 v31, v41, v38
	v_add_f32_e32 v5, v14, v21
	v_sub_f32_e32 v11, v21, v14
	v_add_f32_e32 v17, v20, v23
	v_sub_f32_e32 v19, v16, v22
	;; [unrolled: 2-line block ×4, first 2 shown]
	global_store_dwordx2 v[84:85], v[2:3], off
	v_add_f32_e32 v3, v35, v12
	v_sub_f32_e32 v2, v18, v40
	v_sub_f32_e32 v13, v12, v35
	v_add_f32_e32 v12, v40, v18
	v_add_f32_e32 v18, v43, v25
	v_sub_f32_e32 v16, v42, v39
	v_add_f32_e32 v15, v28, v37
	v_sub_f32_e32 v14, v38, v41
	global_store_dwordx2 v[88:89], v[31:32], off offset:256
	global_store_dwordx2 v[90:91], v[22:23], off offset:512
	;; [unrolled: 1-line block ×6, first 2 shown]
	global_store_dwordx2 v[86:87], v[0:1], off
	global_store_dwordx2 v[74:75], v[12:13], off
	;; [unrolled: 1-line block ×7, first 2 shown]
	s_and_b32 exec_lo, exec_lo, vcc_lo
	s_cbranch_execz .LBB0_20
; %bb.19:
	v_subrev_nc_u32_e32 v0, 64, v57
	v_mov_b32_e32 v28, v26
	v_cndmask_b32_e64 v0, v0, v58, s0
	v_lshlrev_b64 v[12:13], 3, v[27:28]
	v_mul_i32_i24_e32 v25, 6, v0
	v_lshlrev_b64 v[0:1], 3, v[25:26]
	v_add_nc_u32_e32 v25, 0x200, v57
	v_lshlrev_b64 v[14:15], 3, v[25:26]
	v_add_co_u32 v2, vcc_lo, s8, v0
	v_add_co_ci_u32_e32 v3, vcc_lo, s9, v1, vcc_lo
	v_add_nc_u32_e32 v25, 0x320, v57
	v_add_co_u32 v0, vcc_lo, 0x800, v2
	v_add_co_ci_u32_e32 v1, vcc_lo, 0, v3, vcc_lo
	v_add_co_u32 v8, vcc_lo, 0x8f0, v2
	v_add_co_ci_u32_e32 v9, vcc_lo, 0, v3, vcc_lo
	s_clause 0x2
	global_load_dwordx4 v[0:3], v[0:1], off offset:240
	global_load_dwordx4 v[4:7], v[8:9], off offset:16
	;; [unrolled: 1-line block ×3, first 2 shown]
	v_lshlrev_b64 v[16:17], 3, v[25:26]
	v_add_nc_u32_e32 v25, 0x440, v57
	v_add_co_u32 v12, vcc_lo, v24, v12
	v_add_co_ci_u32_e32 v13, vcc_lo, v59, v13, vcc_lo
	v_lshlrev_b64 v[18:19], 3, v[25:26]
	v_add_nc_u32_e32 v25, 0x560, v57
	v_add_co_u32 v14, vcc_lo, v24, v14
	v_add_co_ci_u32_e32 v15, vcc_lo, v59, v15, vcc_lo
	v_lshlrev_b64 v[20:21], 3, v[25:26]
	v_add_nc_u32_e32 v25, 0x680, v57
	v_add_co_u32 v16, vcc_lo, v24, v16
	v_add_co_ci_u32_e32 v17, vcc_lo, v59, v17, vcc_lo
	v_lshlrev_b64 v[22:23], 3, v[25:26]
	v_add_nc_u32_e32 v25, 0x7a0, v57
	v_add_co_u32 v18, vcc_lo, v24, v18
	v_add_co_ci_u32_e32 v19, vcc_lo, v59, v19, vcc_lo
	v_add_co_u32 v20, vcc_lo, v24, v20
	v_lshlrev_b64 v[25:26], 3, v[25:26]
	v_add_co_ci_u32_e32 v21, vcc_lo, v59, v21, vcc_lo
	v_add_co_u32 v22, vcc_lo, v24, v22
	v_add_co_ci_u32_e32 v23, vcc_lo, v59, v23, vcc_lo
	v_add_co_u32 v24, vcc_lo, v24, v25
	v_add_co_ci_u32_e32 v25, vcc_lo, v59, v26, vcc_lo
	s_waitcnt vmcnt(2)
	v_mul_f32_e32 v26, v67, v1
	v_mul_f32_e32 v1, v62, v1
	;; [unrolled: 1-line block ×4, first 2 shown]
	s_waitcnt vmcnt(1)
	v_mul_f32_e32 v28, v34, v5
	v_mul_f32_e32 v5, v30, v5
	s_waitcnt vmcnt(0)
	v_mul_f32_e32 v32, v69, v9
	v_mul_f32_e32 v9, v64, v9
	;; [unrolled: 1-line block ×6, first 2 shown]
	v_fmac_f32_e32 v26, v62, v0
	v_fma_f32 v0, v67, v0, -v1
	v_fmac_f32_e32 v27, v63, v2
	v_fma_f32 v1, v68, v2, -v3
	v_fma_f32 v2, v34, v4, -v5
	v_fmac_f32_e32 v35, v66, v10
	v_fma_f32 v3, v70, v10, -v11
	v_fmac_f32_e32 v32, v64, v8
	;; [unrolled: 2-line block ×3, first 2 shown]
	v_fmac_f32_e32 v31, v65, v6
	v_fma_f32 v4, v61, v6, -v7
	v_add_f32_e32 v6, v26, v35
	v_add_f32_e32 v7, v0, v3
	v_sub_f32_e32 v0, v0, v3
	v_add_f32_e32 v3, v27, v32
	v_add_f32_e32 v9, v1, v5
	v_sub_f32_e32 v8, v26, v35
	v_sub_f32_e32 v10, v27, v32
	;; [unrolled: 1-line block ×3, first 2 shown]
	v_add_f32_e32 v5, v28, v31
	v_add_f32_e32 v11, v2, v4
	v_sub_f32_e32 v26, v31, v28
	v_sub_f32_e32 v2, v4, v2
	v_add_f32_e32 v4, v3, v6
	v_add_f32_e32 v27, v9, v7
	v_sub_f32_e32 v28, v3, v6
	v_sub_f32_e32 v30, v9, v7
	v_sub_f32_e32 v6, v6, v5
	v_sub_f32_e32 v7, v7, v11
	v_sub_f32_e32 v3, v5, v3
	v_sub_f32_e32 v9, v11, v9
	v_add_f32_e32 v31, v26, v10
	v_add_f32_e32 v32, v2, v1
	v_sub_f32_e32 v34, v26, v10
	v_sub_f32_e32 v35, v2, v1
	v_sub_f32_e32 v36, v1, v0
	v_add_f32_e32 v4, v5, v4
	v_add_f32_e32 v5, v11, v27
	v_sub_f32_e32 v10, v10, v8
	v_sub_f32_e32 v26, v8, v26
	;; [unrolled: 1-line block ×3, first 2 shown]
	v_add_f32_e32 v8, v31, v8
	v_add_f32_e32 v11, v32, v0
	v_mul_f32_e32 v6, 0x3f4a47b2, v6
	v_mul_f32_e32 v7, 0x3f4a47b2, v7
	;; [unrolled: 1-line block ×7, first 2 shown]
	v_add_f32_e32 v0, v29, v4
	v_add_f32_e32 v1, v33, v5
	v_mul_f32_e32 v35, 0xbf5ff5aa, v10
	v_fmamk_f32 v3, v3, 0x3d64c772, v6
	v_fmamk_f32 v9, v9, 0x3d64c772, v7
	v_fma_f32 v27, 0x3f3bfb3b, v28, -v27
	v_fma_f32 v29, 0x3f3bfb3b, v30, -v31
	;; [unrolled: 1-line block ×4, first 2 shown]
	v_fmamk_f32 v28, v26, 0xbeae86e6, v32
	v_fmamk_f32 v30, v2, 0xbeae86e6, v34
	v_fma_f32 v10, 0xbf5ff5aa, v10, -v32
	v_fma_f32 v31, 0xbf5ff5aa, v36, -v34
	;; [unrolled: 1-line block ×3, first 2 shown]
	v_fmamk_f32 v2, v4, 0xbf955555, v0
	v_fmamk_f32 v4, v5, 0xbf955555, v1
	v_fma_f32 v26, 0x3eae86e6, v26, -v35
	v_fmac_f32_e32 v28, 0xbee1c552, v8
	v_fmac_f32_e32 v30, 0xbee1c552, v11
	v_fmac_f32_e32 v31, 0xbee1c552, v11
	v_fmac_f32_e32 v32, 0xbee1c552, v11
	global_store_dwordx2 v[12:13], v[0:1], off
	v_add_f32_e32 v11, v3, v2
	v_add_f32_e32 v12, v9, v4
	v_fmac_f32_e32 v26, 0xbee1c552, v8
	v_add_f32_e32 v9, v6, v2
	v_add_f32_e32 v13, v7, v4
	v_fmac_f32_e32 v10, 0xbee1c552, v8
	v_add_f32_e32 v8, v27, v2
	v_add_f32_e32 v7, v29, v4
	;; [unrolled: 1-line block ×3, first 2 shown]
	v_sub_f32_e32 v1, v12, v28
	v_add_f32_e32 v2, v32, v9
	v_sub_f32_e32 v3, v13, v26
	v_sub_f32_e32 v4, v8, v31
	v_add_f32_e32 v5, v10, v7
	v_add_f32_e32 v6, v31, v8
	v_sub_f32_e32 v7, v7, v10
	v_sub_f32_e32 v8, v9, v32
	v_add_f32_e32 v9, v26, v13
	v_sub_f32_e32 v10, v11, v30
	v_add_f32_e32 v11, v28, v12
	global_store_dwordx2 v[14:15], v[0:1], off
	global_store_dwordx2 v[16:17], v[2:3], off
	;; [unrolled: 1-line block ×6, first 2 shown]
.LBB0_20:
	s_endpgm
	.section	.rodata,"a",@progbits
	.p2align	6, 0x0
	.amdhsa_kernel fft_rtc_back_len2016_factors_2_2_2_2_2_3_3_7_wgs_224_tpt_112_halfLds_sp_op_CI_CI_unitstride_sbrr_dirReg
		.amdhsa_group_segment_fixed_size 0
		.amdhsa_private_segment_fixed_size 0
		.amdhsa_kernarg_size 104
		.amdhsa_user_sgpr_count 6
		.amdhsa_user_sgpr_private_segment_buffer 1
		.amdhsa_user_sgpr_dispatch_ptr 0
		.amdhsa_user_sgpr_queue_ptr 0
		.amdhsa_user_sgpr_kernarg_segment_ptr 1
		.amdhsa_user_sgpr_dispatch_id 0
		.amdhsa_user_sgpr_flat_scratch_init 0
		.amdhsa_user_sgpr_private_segment_size 0
		.amdhsa_wavefront_size32 1
		.amdhsa_uses_dynamic_stack 0
		.amdhsa_system_sgpr_private_segment_wavefront_offset 0
		.amdhsa_system_sgpr_workgroup_id_x 1
		.amdhsa_system_sgpr_workgroup_id_y 0
		.amdhsa_system_sgpr_workgroup_id_z 0
		.amdhsa_system_sgpr_workgroup_info 0
		.amdhsa_system_vgpr_workitem_id 0
		.amdhsa_next_free_vgpr 103
		.amdhsa_next_free_sgpr 27
		.amdhsa_reserve_vcc 1
		.amdhsa_reserve_flat_scratch 0
		.amdhsa_float_round_mode_32 0
		.amdhsa_float_round_mode_16_64 0
		.amdhsa_float_denorm_mode_32 3
		.amdhsa_float_denorm_mode_16_64 3
		.amdhsa_dx10_clamp 1
		.amdhsa_ieee_mode 1
		.amdhsa_fp16_overflow 0
		.amdhsa_workgroup_processor_mode 1
		.amdhsa_memory_ordered 1
		.amdhsa_forward_progress 0
		.amdhsa_shared_vgpr_count 0
		.amdhsa_exception_fp_ieee_invalid_op 0
		.amdhsa_exception_fp_denorm_src 0
		.amdhsa_exception_fp_ieee_div_zero 0
		.amdhsa_exception_fp_ieee_overflow 0
		.amdhsa_exception_fp_ieee_underflow 0
		.amdhsa_exception_fp_ieee_inexact 0
		.amdhsa_exception_int_div_zero 0
	.end_amdhsa_kernel
	.text
.Lfunc_end0:
	.size	fft_rtc_back_len2016_factors_2_2_2_2_2_3_3_7_wgs_224_tpt_112_halfLds_sp_op_CI_CI_unitstride_sbrr_dirReg, .Lfunc_end0-fft_rtc_back_len2016_factors_2_2_2_2_2_3_3_7_wgs_224_tpt_112_halfLds_sp_op_CI_CI_unitstride_sbrr_dirReg
                                        ; -- End function
	.section	.AMDGPU.csdata,"",@progbits
; Kernel info:
; codeLenInByte = 12648
; NumSgprs: 29
; NumVgprs: 103
; ScratchSize: 0
; MemoryBound: 0
; FloatMode: 240
; IeeeMode: 1
; LDSByteSize: 0 bytes/workgroup (compile time only)
; SGPRBlocks: 3
; VGPRBlocks: 12
; NumSGPRsForWavesPerEU: 29
; NumVGPRsForWavesPerEU: 103
; Occupancy: 9
; WaveLimiterHint : 1
; COMPUTE_PGM_RSRC2:SCRATCH_EN: 0
; COMPUTE_PGM_RSRC2:USER_SGPR: 6
; COMPUTE_PGM_RSRC2:TRAP_HANDLER: 0
; COMPUTE_PGM_RSRC2:TGID_X_EN: 1
; COMPUTE_PGM_RSRC2:TGID_Y_EN: 0
; COMPUTE_PGM_RSRC2:TGID_Z_EN: 0
; COMPUTE_PGM_RSRC2:TIDIG_COMP_CNT: 0
	.text
	.p2alignl 6, 3214868480
	.fill 48, 4, 3214868480
	.type	__hip_cuid_1173bed5a8d8b75c,@object ; @__hip_cuid_1173bed5a8d8b75c
	.section	.bss,"aw",@nobits
	.globl	__hip_cuid_1173bed5a8d8b75c
__hip_cuid_1173bed5a8d8b75c:
	.byte	0                               ; 0x0
	.size	__hip_cuid_1173bed5a8d8b75c, 1

	.ident	"AMD clang version 19.0.0git (https://github.com/RadeonOpenCompute/llvm-project roc-6.4.0 25133 c7fe45cf4b819c5991fe208aaa96edf142730f1d)"
	.section	".note.GNU-stack","",@progbits
	.addrsig
	.addrsig_sym __hip_cuid_1173bed5a8d8b75c
	.amdgpu_metadata
---
amdhsa.kernels:
  - .args:
      - .actual_access:  read_only
        .address_space:  global
        .offset:         0
        .size:           8
        .value_kind:     global_buffer
      - .offset:         8
        .size:           8
        .value_kind:     by_value
      - .actual_access:  read_only
        .address_space:  global
        .offset:         16
        .size:           8
        .value_kind:     global_buffer
      - .actual_access:  read_only
        .address_space:  global
        .offset:         24
        .size:           8
        .value_kind:     global_buffer
      - .actual_access:  read_only
        .address_space:  global
        .offset:         32
        .size:           8
        .value_kind:     global_buffer
      - .offset:         40
        .size:           8
        .value_kind:     by_value
      - .actual_access:  read_only
        .address_space:  global
        .offset:         48
        .size:           8
        .value_kind:     global_buffer
      - .actual_access:  read_only
        .address_space:  global
        .offset:         56
        .size:           8
        .value_kind:     global_buffer
      - .offset:         64
        .size:           4
        .value_kind:     by_value
      - .actual_access:  read_only
        .address_space:  global
        .offset:         72
        .size:           8
        .value_kind:     global_buffer
      - .actual_access:  read_only
        .address_space:  global
        .offset:         80
        .size:           8
        .value_kind:     global_buffer
      - .actual_access:  read_only
        .address_space:  global
        .offset:         88
        .size:           8
        .value_kind:     global_buffer
      - .actual_access:  write_only
        .address_space:  global
        .offset:         96
        .size:           8
        .value_kind:     global_buffer
    .group_segment_fixed_size: 0
    .kernarg_segment_align: 8
    .kernarg_segment_size: 104
    .language:       OpenCL C
    .language_version:
      - 2
      - 0
    .max_flat_workgroup_size: 224
    .name:           fft_rtc_back_len2016_factors_2_2_2_2_2_3_3_7_wgs_224_tpt_112_halfLds_sp_op_CI_CI_unitstride_sbrr_dirReg
    .private_segment_fixed_size: 0
    .sgpr_count:     29
    .sgpr_spill_count: 0
    .symbol:         fft_rtc_back_len2016_factors_2_2_2_2_2_3_3_7_wgs_224_tpt_112_halfLds_sp_op_CI_CI_unitstride_sbrr_dirReg.kd
    .uniform_work_group_size: 1
    .uses_dynamic_stack: false
    .vgpr_count:     103
    .vgpr_spill_count: 0
    .wavefront_size: 32
    .workgroup_processor_mode: 1
amdhsa.target:   amdgcn-amd-amdhsa--gfx1030
amdhsa.version:
  - 1
  - 2
...

	.end_amdgpu_metadata
